;; amdgpu-corpus repo=LLNL/RAJAPerf kind=compiled arch=gfx906 opt=O3
	.amdgcn_target "amdgcn-amd-amdhsa--gfx906"
	.amdhsa_code_object_version 6
	.section	.text._ZN8rajaperf9polybench10poly_3mm_1ILm32ELm8EEEvPdS2_S2_lll,"axG",@progbits,_ZN8rajaperf9polybench10poly_3mm_1ILm32ELm8EEEvPdS2_S2_lll,comdat
	.protected	_ZN8rajaperf9polybench10poly_3mm_1ILm32ELm8EEEvPdS2_S2_lll ; -- Begin function _ZN8rajaperf9polybench10poly_3mm_1ILm32ELm8EEEvPdS2_S2_lll
	.globl	_ZN8rajaperf9polybench10poly_3mm_1ILm32ELm8EEEvPdS2_S2_lll
	.p2align	8
	.type	_ZN8rajaperf9polybench10poly_3mm_1ILm32ELm8EEEvPdS2_S2_lll,@function
_ZN8rajaperf9polybench10poly_3mm_1ILm32ELm8EEEvPdS2_S2_lll: ; @_ZN8rajaperf9polybench10poly_3mm_1ILm32ELm8EEEvPdS2_S2_lll
; %bb.0:
	s_mov_b32 s0, s7
	s_mov_b32 s1, 0
	s_load_dwordx8 s[8:15], s[4:5], 0x0
	s_load_dwordx4 s[16:19], s[4:5], 0x20
	s_lshl_b64 s[2:3], s[0:1], 3
	v_mov_b32_e32 v2, s3
	v_add_co_u32_e32 v1, vcc, s2, v1
	s_mov_b32 s7, s1
	v_addc_co_u32_e32 v2, vcc, 0, v2, vcc
	s_lshl_b64 s[0:1], s[6:7], 5
	v_mov_b32_e32 v4, s1
	v_add_co_u32_e32 v3, vcc, s0, v0
	v_addc_co_u32_e32 v4, vcc, 0, v4, vcc
	s_waitcnt lgkmcnt(0)
	v_cmp_gt_i64_e32 vcc, s[14:15], v[1:2]
	v_cmp_gt_i64_e64 s[0:1], s[16:17], v[3:4]
	s_and_b64 s[0:1], vcc, s[0:1]
	s_and_saveexec_b64 s[2:3], s[0:1]
	s_cbranch_execz .LBB0_6
; %bb.1:
	v_cmp_lt_i64_e64 s[0:1], s[18:19], 1
	v_lshlrev_b64 v[3:4], 3, v[3:4]
	s_and_b64 vcc, exec, s[0:1]
	s_cbranch_vccnz .LBB0_4
; %bb.2:
	v_mul_lo_u32 v0, s19, v1
	v_mul_lo_u32 v7, s18, v2
	v_mad_u64_u32 v[5:6], s[0:1], s18, v1, 0
	s_lshl_b64 s[0:1], s[16:17], 3
	v_add3_u32 v6, v6, v7, v0
	v_lshlrev_b64 v[5:6], 3, v[5:6]
	v_mov_b32_e32 v0, s11
	v_add_co_u32_e32 v7, vcc, s10, v5
	v_addc_co_u32_e32 v8, vcc, v0, v6, vcc
	v_mov_b32_e32 v0, s13
	v_add_co_u32_e32 v9, vcc, s12, v3
	v_mov_b32_e32 v5, 0
	v_addc_co_u32_e32 v10, vcc, v0, v4, vcc
	v_mov_b32_e32 v6, 0
	v_mov_b32_e32 v0, s1
.LBB0_3:                                ; =>This Inner Loop Header: Depth=1
	global_load_dwordx2 v[11:12], v[7:8], off
	global_load_dwordx2 v[13:14], v[9:10], off
	v_add_co_u32_e32 v7, vcc, 8, v7
	v_addc_co_u32_e32 v8, vcc, 0, v8, vcc
	s_add_u32 s18, s18, -1
	v_add_co_u32_e32 v9, vcc, s0, v9
	s_addc_u32 s19, s19, -1
	s_cmp_eq_u64 s[18:19], 0
	v_addc_co_u32_e32 v10, vcc, v10, v0, vcc
	s_waitcnt vmcnt(0)
	v_fma_f64 v[5:6], v[11:12], v[13:14], v[5:6]
	s_cbranch_scc0 .LBB0_3
	s_branch .LBB0_5
.LBB0_4:
	v_mov_b32_e32 v5, 0
	v_mov_b32_e32 v6, 0
.LBB0_5:
	v_mul_lo_u32 v7, s17, v1
	v_mul_lo_u32 v2, s16, v2
	v_mad_u64_u32 v[0:1], s[0:1], s16, v1, 0
	v_add_co_u32_e32 v3, vcc, s8, v3
	v_add3_u32 v1, v1, v2, v7
	v_mov_b32_e32 v2, s9
	v_lshlrev_b64 v[0:1], 3, v[0:1]
	v_addc_co_u32_e32 v2, vcc, v2, v4, vcc
	v_add_co_u32_e32 v0, vcc, v3, v0
	v_addc_co_u32_e32 v1, vcc, v2, v1, vcc
	global_store_dwordx2 v[0:1], v[5:6], off
.LBB0_6:
	s_endpgm
	.section	.rodata,"a",@progbits
	.p2align	6, 0x0
	.amdhsa_kernel _ZN8rajaperf9polybench10poly_3mm_1ILm32ELm8EEEvPdS2_S2_lll
		.amdhsa_group_segment_fixed_size 0
		.amdhsa_private_segment_fixed_size 0
		.amdhsa_kernarg_size 48
		.amdhsa_user_sgpr_count 6
		.amdhsa_user_sgpr_private_segment_buffer 1
		.amdhsa_user_sgpr_dispatch_ptr 0
		.amdhsa_user_sgpr_queue_ptr 0
		.amdhsa_user_sgpr_kernarg_segment_ptr 1
		.amdhsa_user_sgpr_dispatch_id 0
		.amdhsa_user_sgpr_flat_scratch_init 0
		.amdhsa_user_sgpr_private_segment_size 0
		.amdhsa_uses_dynamic_stack 0
		.amdhsa_system_sgpr_private_segment_wavefront_offset 0
		.amdhsa_system_sgpr_workgroup_id_x 1
		.amdhsa_system_sgpr_workgroup_id_y 1
		.amdhsa_system_sgpr_workgroup_id_z 0
		.amdhsa_system_sgpr_workgroup_info 0
		.amdhsa_system_vgpr_workitem_id 1
		.amdhsa_next_free_vgpr 15
		.amdhsa_next_free_sgpr 20
		.amdhsa_reserve_vcc 1
		.amdhsa_reserve_flat_scratch 0
		.amdhsa_float_round_mode_32 0
		.amdhsa_float_round_mode_16_64 0
		.amdhsa_float_denorm_mode_32 3
		.amdhsa_float_denorm_mode_16_64 3
		.amdhsa_dx10_clamp 1
		.amdhsa_ieee_mode 1
		.amdhsa_fp16_overflow 0
		.amdhsa_exception_fp_ieee_invalid_op 0
		.amdhsa_exception_fp_denorm_src 0
		.amdhsa_exception_fp_ieee_div_zero 0
		.amdhsa_exception_fp_ieee_overflow 0
		.amdhsa_exception_fp_ieee_underflow 0
		.amdhsa_exception_fp_ieee_inexact 0
		.amdhsa_exception_int_div_zero 0
	.end_amdhsa_kernel
	.section	.text._ZN8rajaperf9polybench10poly_3mm_1ILm32ELm8EEEvPdS2_S2_lll,"axG",@progbits,_ZN8rajaperf9polybench10poly_3mm_1ILm32ELm8EEEvPdS2_S2_lll,comdat
.Lfunc_end0:
	.size	_ZN8rajaperf9polybench10poly_3mm_1ILm32ELm8EEEvPdS2_S2_lll, .Lfunc_end0-_ZN8rajaperf9polybench10poly_3mm_1ILm32ELm8EEEvPdS2_S2_lll
                                        ; -- End function
	.set _ZN8rajaperf9polybench10poly_3mm_1ILm32ELm8EEEvPdS2_S2_lll.num_vgpr, 15
	.set _ZN8rajaperf9polybench10poly_3mm_1ILm32ELm8EEEvPdS2_S2_lll.num_agpr, 0
	.set _ZN8rajaperf9polybench10poly_3mm_1ILm32ELm8EEEvPdS2_S2_lll.numbered_sgpr, 20
	.set _ZN8rajaperf9polybench10poly_3mm_1ILm32ELm8EEEvPdS2_S2_lll.num_named_barrier, 0
	.set _ZN8rajaperf9polybench10poly_3mm_1ILm32ELm8EEEvPdS2_S2_lll.private_seg_size, 0
	.set _ZN8rajaperf9polybench10poly_3mm_1ILm32ELm8EEEvPdS2_S2_lll.uses_vcc, 1
	.set _ZN8rajaperf9polybench10poly_3mm_1ILm32ELm8EEEvPdS2_S2_lll.uses_flat_scratch, 0
	.set _ZN8rajaperf9polybench10poly_3mm_1ILm32ELm8EEEvPdS2_S2_lll.has_dyn_sized_stack, 0
	.set _ZN8rajaperf9polybench10poly_3mm_1ILm32ELm8EEEvPdS2_S2_lll.has_recursion, 0
	.set _ZN8rajaperf9polybench10poly_3mm_1ILm32ELm8EEEvPdS2_S2_lll.has_indirect_call, 0
	.section	.AMDGPU.csdata,"",@progbits
; Kernel info:
; codeLenInByte = 336
; TotalNumSgprs: 24
; NumVgprs: 15
; ScratchSize: 0
; MemoryBound: 0
; FloatMode: 240
; IeeeMode: 1
; LDSByteSize: 0 bytes/workgroup (compile time only)
; SGPRBlocks: 2
; VGPRBlocks: 3
; NumSGPRsForWavesPerEU: 24
; NumVGPRsForWavesPerEU: 15
; Occupancy: 10
; WaveLimiterHint : 0
; COMPUTE_PGM_RSRC2:SCRATCH_EN: 0
; COMPUTE_PGM_RSRC2:USER_SGPR: 6
; COMPUTE_PGM_RSRC2:TRAP_HANDLER: 0
; COMPUTE_PGM_RSRC2:TGID_X_EN: 1
; COMPUTE_PGM_RSRC2:TGID_Y_EN: 1
; COMPUTE_PGM_RSRC2:TGID_Z_EN: 0
; COMPUTE_PGM_RSRC2:TIDIG_COMP_CNT: 1
	.section	.text._ZN8rajaperf9polybench10poly_3mm_2ILm32ELm8EEEvPdS2_S2_lll,"axG",@progbits,_ZN8rajaperf9polybench10poly_3mm_2ILm32ELm8EEEvPdS2_S2_lll,comdat
	.protected	_ZN8rajaperf9polybench10poly_3mm_2ILm32ELm8EEEvPdS2_S2_lll ; -- Begin function _ZN8rajaperf9polybench10poly_3mm_2ILm32ELm8EEEvPdS2_S2_lll
	.globl	_ZN8rajaperf9polybench10poly_3mm_2ILm32ELm8EEEvPdS2_S2_lll
	.p2align	8
	.type	_ZN8rajaperf9polybench10poly_3mm_2ILm32ELm8EEEvPdS2_S2_lll,@function
_ZN8rajaperf9polybench10poly_3mm_2ILm32ELm8EEEvPdS2_S2_lll: ; @_ZN8rajaperf9polybench10poly_3mm_2ILm32ELm8EEEvPdS2_S2_lll
; %bb.0:
	s_mov_b32 s0, s7
	s_mov_b32 s1, 0
	s_load_dwordx8 s[8:15], s[4:5], 0x0
	s_load_dwordx4 s[16:19], s[4:5], 0x20
	s_lshl_b64 s[2:3], s[0:1], 3
	v_mov_b32_e32 v2, s3
	v_add_co_u32_e32 v1, vcc, s2, v1
	s_mov_b32 s7, s1
	v_addc_co_u32_e32 v2, vcc, 0, v2, vcc
	s_lshl_b64 s[0:1], s[6:7], 5
	v_mov_b32_e32 v4, s1
	v_add_co_u32_e32 v3, vcc, s0, v0
	v_addc_co_u32_e32 v4, vcc, 0, v4, vcc
	s_waitcnt lgkmcnt(0)
	v_cmp_gt_i64_e32 vcc, s[14:15], v[1:2]
	v_cmp_gt_i64_e64 s[0:1], s[16:17], v[3:4]
	s_and_b64 s[0:1], vcc, s[0:1]
	s_and_saveexec_b64 s[2:3], s[0:1]
	s_cbranch_execz .LBB1_6
; %bb.1:
	v_cmp_lt_i64_e64 s[0:1], s[18:19], 1
	v_lshlrev_b64 v[3:4], 3, v[3:4]
	s_and_b64 vcc, exec, s[0:1]
	s_cbranch_vccnz .LBB1_4
; %bb.2:
	v_mul_lo_u32 v0, s19, v1
	v_mul_lo_u32 v7, s18, v2
	v_mad_u64_u32 v[5:6], s[0:1], s18, v1, 0
	s_lshl_b64 s[0:1], s[16:17], 3
	v_add3_u32 v6, v6, v7, v0
	v_lshlrev_b64 v[5:6], 3, v[5:6]
	v_mov_b32_e32 v0, s11
	v_add_co_u32_e32 v7, vcc, s10, v5
	v_addc_co_u32_e32 v8, vcc, v0, v6, vcc
	v_mov_b32_e32 v0, s13
	v_add_co_u32_e32 v9, vcc, s12, v3
	v_mov_b32_e32 v5, 0
	v_addc_co_u32_e32 v10, vcc, v0, v4, vcc
	v_mov_b32_e32 v6, 0
	v_mov_b32_e32 v0, s1
.LBB1_3:                                ; =>This Inner Loop Header: Depth=1
	global_load_dwordx2 v[11:12], v[7:8], off
	global_load_dwordx2 v[13:14], v[9:10], off
	v_add_co_u32_e32 v7, vcc, 8, v7
	v_addc_co_u32_e32 v8, vcc, 0, v8, vcc
	s_add_u32 s18, s18, -1
	v_add_co_u32_e32 v9, vcc, s0, v9
	s_addc_u32 s19, s19, -1
	s_cmp_eq_u64 s[18:19], 0
	v_addc_co_u32_e32 v10, vcc, v10, v0, vcc
	s_waitcnt vmcnt(0)
	v_fma_f64 v[5:6], v[11:12], v[13:14], v[5:6]
	s_cbranch_scc0 .LBB1_3
	s_branch .LBB1_5
.LBB1_4:
	v_mov_b32_e32 v5, 0
	v_mov_b32_e32 v6, 0
.LBB1_5:
	v_mul_lo_u32 v7, s17, v1
	v_mul_lo_u32 v2, s16, v2
	v_mad_u64_u32 v[0:1], s[0:1], s16, v1, 0
	v_add_co_u32_e32 v3, vcc, s8, v3
	v_add3_u32 v1, v1, v2, v7
	v_mov_b32_e32 v2, s9
	v_lshlrev_b64 v[0:1], 3, v[0:1]
	v_addc_co_u32_e32 v2, vcc, v2, v4, vcc
	v_add_co_u32_e32 v0, vcc, v3, v0
	v_addc_co_u32_e32 v1, vcc, v2, v1, vcc
	global_store_dwordx2 v[0:1], v[5:6], off
.LBB1_6:
	s_endpgm
	.section	.rodata,"a",@progbits
	.p2align	6, 0x0
	.amdhsa_kernel _ZN8rajaperf9polybench10poly_3mm_2ILm32ELm8EEEvPdS2_S2_lll
		.amdhsa_group_segment_fixed_size 0
		.amdhsa_private_segment_fixed_size 0
		.amdhsa_kernarg_size 48
		.amdhsa_user_sgpr_count 6
		.amdhsa_user_sgpr_private_segment_buffer 1
		.amdhsa_user_sgpr_dispatch_ptr 0
		.amdhsa_user_sgpr_queue_ptr 0
		.amdhsa_user_sgpr_kernarg_segment_ptr 1
		.amdhsa_user_sgpr_dispatch_id 0
		.amdhsa_user_sgpr_flat_scratch_init 0
		.amdhsa_user_sgpr_private_segment_size 0
		.amdhsa_uses_dynamic_stack 0
		.amdhsa_system_sgpr_private_segment_wavefront_offset 0
		.amdhsa_system_sgpr_workgroup_id_x 1
		.amdhsa_system_sgpr_workgroup_id_y 1
		.amdhsa_system_sgpr_workgroup_id_z 0
		.amdhsa_system_sgpr_workgroup_info 0
		.amdhsa_system_vgpr_workitem_id 1
		.amdhsa_next_free_vgpr 15
		.amdhsa_next_free_sgpr 20
		.amdhsa_reserve_vcc 1
		.amdhsa_reserve_flat_scratch 0
		.amdhsa_float_round_mode_32 0
		.amdhsa_float_round_mode_16_64 0
		.amdhsa_float_denorm_mode_32 3
		.amdhsa_float_denorm_mode_16_64 3
		.amdhsa_dx10_clamp 1
		.amdhsa_ieee_mode 1
		.amdhsa_fp16_overflow 0
		.amdhsa_exception_fp_ieee_invalid_op 0
		.amdhsa_exception_fp_denorm_src 0
		.amdhsa_exception_fp_ieee_div_zero 0
		.amdhsa_exception_fp_ieee_overflow 0
		.amdhsa_exception_fp_ieee_underflow 0
		.amdhsa_exception_fp_ieee_inexact 0
		.amdhsa_exception_int_div_zero 0
	.end_amdhsa_kernel
	.section	.text._ZN8rajaperf9polybench10poly_3mm_2ILm32ELm8EEEvPdS2_S2_lll,"axG",@progbits,_ZN8rajaperf9polybench10poly_3mm_2ILm32ELm8EEEvPdS2_S2_lll,comdat
.Lfunc_end1:
	.size	_ZN8rajaperf9polybench10poly_3mm_2ILm32ELm8EEEvPdS2_S2_lll, .Lfunc_end1-_ZN8rajaperf9polybench10poly_3mm_2ILm32ELm8EEEvPdS2_S2_lll
                                        ; -- End function
	.set _ZN8rajaperf9polybench10poly_3mm_2ILm32ELm8EEEvPdS2_S2_lll.num_vgpr, 15
	.set _ZN8rajaperf9polybench10poly_3mm_2ILm32ELm8EEEvPdS2_S2_lll.num_agpr, 0
	.set _ZN8rajaperf9polybench10poly_3mm_2ILm32ELm8EEEvPdS2_S2_lll.numbered_sgpr, 20
	.set _ZN8rajaperf9polybench10poly_3mm_2ILm32ELm8EEEvPdS2_S2_lll.num_named_barrier, 0
	.set _ZN8rajaperf9polybench10poly_3mm_2ILm32ELm8EEEvPdS2_S2_lll.private_seg_size, 0
	.set _ZN8rajaperf9polybench10poly_3mm_2ILm32ELm8EEEvPdS2_S2_lll.uses_vcc, 1
	.set _ZN8rajaperf9polybench10poly_3mm_2ILm32ELm8EEEvPdS2_S2_lll.uses_flat_scratch, 0
	.set _ZN8rajaperf9polybench10poly_3mm_2ILm32ELm8EEEvPdS2_S2_lll.has_dyn_sized_stack, 0
	.set _ZN8rajaperf9polybench10poly_3mm_2ILm32ELm8EEEvPdS2_S2_lll.has_recursion, 0
	.set _ZN8rajaperf9polybench10poly_3mm_2ILm32ELm8EEEvPdS2_S2_lll.has_indirect_call, 0
	.section	.AMDGPU.csdata,"",@progbits
; Kernel info:
; codeLenInByte = 336
; TotalNumSgprs: 24
; NumVgprs: 15
; ScratchSize: 0
; MemoryBound: 0
; FloatMode: 240
; IeeeMode: 1
; LDSByteSize: 0 bytes/workgroup (compile time only)
; SGPRBlocks: 2
; VGPRBlocks: 3
; NumSGPRsForWavesPerEU: 24
; NumVGPRsForWavesPerEU: 15
; Occupancy: 10
; WaveLimiterHint : 0
; COMPUTE_PGM_RSRC2:SCRATCH_EN: 0
; COMPUTE_PGM_RSRC2:USER_SGPR: 6
; COMPUTE_PGM_RSRC2:TRAP_HANDLER: 0
; COMPUTE_PGM_RSRC2:TGID_X_EN: 1
; COMPUTE_PGM_RSRC2:TGID_Y_EN: 1
; COMPUTE_PGM_RSRC2:TGID_Z_EN: 0
; COMPUTE_PGM_RSRC2:TIDIG_COMP_CNT: 1
	.section	.text._ZN8rajaperf9polybench10poly_3mm_3ILm32ELm8EEEvPdS2_S2_lll,"axG",@progbits,_ZN8rajaperf9polybench10poly_3mm_3ILm32ELm8EEEvPdS2_S2_lll,comdat
	.protected	_ZN8rajaperf9polybench10poly_3mm_3ILm32ELm8EEEvPdS2_S2_lll ; -- Begin function _ZN8rajaperf9polybench10poly_3mm_3ILm32ELm8EEEvPdS2_S2_lll
	.globl	_ZN8rajaperf9polybench10poly_3mm_3ILm32ELm8EEEvPdS2_S2_lll
	.p2align	8
	.type	_ZN8rajaperf9polybench10poly_3mm_3ILm32ELm8EEEvPdS2_S2_lll,@function
_ZN8rajaperf9polybench10poly_3mm_3ILm32ELm8EEEvPdS2_S2_lll: ; @_ZN8rajaperf9polybench10poly_3mm_3ILm32ELm8EEEvPdS2_S2_lll
; %bb.0:
	s_mov_b32 s0, s7
	s_mov_b32 s1, 0
	s_load_dwordx8 s[8:15], s[4:5], 0x0
	s_load_dwordx4 s[16:19], s[4:5], 0x20
	s_lshl_b64 s[2:3], s[0:1], 3
	v_mov_b32_e32 v2, s3
	v_add_co_u32_e32 v1, vcc, s2, v1
	s_mov_b32 s7, s1
	v_addc_co_u32_e32 v2, vcc, 0, v2, vcc
	s_lshl_b64 s[0:1], s[6:7], 5
	v_mov_b32_e32 v4, s1
	v_add_co_u32_e32 v3, vcc, s0, v0
	v_addc_co_u32_e32 v4, vcc, 0, v4, vcc
	s_waitcnt lgkmcnt(0)
	v_cmp_gt_i64_e32 vcc, s[14:15], v[1:2]
	v_cmp_gt_i64_e64 s[0:1], s[16:17], v[3:4]
	s_and_b64 s[0:1], vcc, s[0:1]
	s_and_saveexec_b64 s[2:3], s[0:1]
	s_cbranch_execz .LBB2_6
; %bb.1:
	v_cmp_lt_i64_e64 s[0:1], s[18:19], 1
	v_lshlrev_b64 v[3:4], 3, v[3:4]
	s_and_b64 vcc, exec, s[0:1]
	s_cbranch_vccnz .LBB2_4
; %bb.2:
	v_mul_lo_u32 v0, s19, v1
	v_mul_lo_u32 v7, s18, v2
	v_mad_u64_u32 v[5:6], s[0:1], s18, v1, 0
	s_lshl_b64 s[0:1], s[16:17], 3
	v_add3_u32 v6, v6, v7, v0
	v_lshlrev_b64 v[5:6], 3, v[5:6]
	v_mov_b32_e32 v0, s11
	v_add_co_u32_e32 v7, vcc, s10, v5
	v_addc_co_u32_e32 v8, vcc, v0, v6, vcc
	v_mov_b32_e32 v0, s13
	v_add_co_u32_e32 v9, vcc, s12, v3
	v_mov_b32_e32 v5, 0
	v_addc_co_u32_e32 v10, vcc, v0, v4, vcc
	v_mov_b32_e32 v6, 0
	v_mov_b32_e32 v0, s1
.LBB2_3:                                ; =>This Inner Loop Header: Depth=1
	global_load_dwordx2 v[11:12], v[7:8], off
	global_load_dwordx2 v[13:14], v[9:10], off
	v_add_co_u32_e32 v7, vcc, 8, v7
	v_addc_co_u32_e32 v8, vcc, 0, v8, vcc
	s_add_u32 s18, s18, -1
	v_add_co_u32_e32 v9, vcc, s0, v9
	s_addc_u32 s19, s19, -1
	s_cmp_eq_u64 s[18:19], 0
	v_addc_co_u32_e32 v10, vcc, v10, v0, vcc
	s_waitcnt vmcnt(0)
	v_fma_f64 v[5:6], v[11:12], v[13:14], v[5:6]
	s_cbranch_scc0 .LBB2_3
	s_branch .LBB2_5
.LBB2_4:
	v_mov_b32_e32 v5, 0
	v_mov_b32_e32 v6, 0
.LBB2_5:
	v_mul_lo_u32 v7, s17, v1
	v_mul_lo_u32 v2, s16, v2
	v_mad_u64_u32 v[0:1], s[0:1], s16, v1, 0
	v_add_co_u32_e32 v3, vcc, s8, v3
	v_add3_u32 v1, v1, v2, v7
	v_mov_b32_e32 v2, s9
	v_lshlrev_b64 v[0:1], 3, v[0:1]
	v_addc_co_u32_e32 v2, vcc, v2, v4, vcc
	v_add_co_u32_e32 v0, vcc, v3, v0
	v_addc_co_u32_e32 v1, vcc, v2, v1, vcc
	global_store_dwordx2 v[0:1], v[5:6], off
.LBB2_6:
	s_endpgm
	.section	.rodata,"a",@progbits
	.p2align	6, 0x0
	.amdhsa_kernel _ZN8rajaperf9polybench10poly_3mm_3ILm32ELm8EEEvPdS2_S2_lll
		.amdhsa_group_segment_fixed_size 0
		.amdhsa_private_segment_fixed_size 0
		.amdhsa_kernarg_size 48
		.amdhsa_user_sgpr_count 6
		.amdhsa_user_sgpr_private_segment_buffer 1
		.amdhsa_user_sgpr_dispatch_ptr 0
		.amdhsa_user_sgpr_queue_ptr 0
		.amdhsa_user_sgpr_kernarg_segment_ptr 1
		.amdhsa_user_sgpr_dispatch_id 0
		.amdhsa_user_sgpr_flat_scratch_init 0
		.amdhsa_user_sgpr_private_segment_size 0
		.amdhsa_uses_dynamic_stack 0
		.amdhsa_system_sgpr_private_segment_wavefront_offset 0
		.amdhsa_system_sgpr_workgroup_id_x 1
		.amdhsa_system_sgpr_workgroup_id_y 1
		.amdhsa_system_sgpr_workgroup_id_z 0
		.amdhsa_system_sgpr_workgroup_info 0
		.amdhsa_system_vgpr_workitem_id 1
		.amdhsa_next_free_vgpr 15
		.amdhsa_next_free_sgpr 20
		.amdhsa_reserve_vcc 1
		.amdhsa_reserve_flat_scratch 0
		.amdhsa_float_round_mode_32 0
		.amdhsa_float_round_mode_16_64 0
		.amdhsa_float_denorm_mode_32 3
		.amdhsa_float_denorm_mode_16_64 3
		.amdhsa_dx10_clamp 1
		.amdhsa_ieee_mode 1
		.amdhsa_fp16_overflow 0
		.amdhsa_exception_fp_ieee_invalid_op 0
		.amdhsa_exception_fp_denorm_src 0
		.amdhsa_exception_fp_ieee_div_zero 0
		.amdhsa_exception_fp_ieee_overflow 0
		.amdhsa_exception_fp_ieee_underflow 0
		.amdhsa_exception_fp_ieee_inexact 0
		.amdhsa_exception_int_div_zero 0
	.end_amdhsa_kernel
	.section	.text._ZN8rajaperf9polybench10poly_3mm_3ILm32ELm8EEEvPdS2_S2_lll,"axG",@progbits,_ZN8rajaperf9polybench10poly_3mm_3ILm32ELm8EEEvPdS2_S2_lll,comdat
.Lfunc_end2:
	.size	_ZN8rajaperf9polybench10poly_3mm_3ILm32ELm8EEEvPdS2_S2_lll, .Lfunc_end2-_ZN8rajaperf9polybench10poly_3mm_3ILm32ELm8EEEvPdS2_S2_lll
                                        ; -- End function
	.set _ZN8rajaperf9polybench10poly_3mm_3ILm32ELm8EEEvPdS2_S2_lll.num_vgpr, 15
	.set _ZN8rajaperf9polybench10poly_3mm_3ILm32ELm8EEEvPdS2_S2_lll.num_agpr, 0
	.set _ZN8rajaperf9polybench10poly_3mm_3ILm32ELm8EEEvPdS2_S2_lll.numbered_sgpr, 20
	.set _ZN8rajaperf9polybench10poly_3mm_3ILm32ELm8EEEvPdS2_S2_lll.num_named_barrier, 0
	.set _ZN8rajaperf9polybench10poly_3mm_3ILm32ELm8EEEvPdS2_S2_lll.private_seg_size, 0
	.set _ZN8rajaperf9polybench10poly_3mm_3ILm32ELm8EEEvPdS2_S2_lll.uses_vcc, 1
	.set _ZN8rajaperf9polybench10poly_3mm_3ILm32ELm8EEEvPdS2_S2_lll.uses_flat_scratch, 0
	.set _ZN8rajaperf9polybench10poly_3mm_3ILm32ELm8EEEvPdS2_S2_lll.has_dyn_sized_stack, 0
	.set _ZN8rajaperf9polybench10poly_3mm_3ILm32ELm8EEEvPdS2_S2_lll.has_recursion, 0
	.set _ZN8rajaperf9polybench10poly_3mm_3ILm32ELm8EEEvPdS2_S2_lll.has_indirect_call, 0
	.section	.AMDGPU.csdata,"",@progbits
; Kernel info:
; codeLenInByte = 336
; TotalNumSgprs: 24
; NumVgprs: 15
; ScratchSize: 0
; MemoryBound: 0
; FloatMode: 240
; IeeeMode: 1
; LDSByteSize: 0 bytes/workgroup (compile time only)
; SGPRBlocks: 2
; VGPRBlocks: 3
; NumSGPRsForWavesPerEU: 24
; NumVGPRsForWavesPerEU: 15
; Occupancy: 10
; WaveLimiterHint : 0
; COMPUTE_PGM_RSRC2:SCRATCH_EN: 0
; COMPUTE_PGM_RSRC2:USER_SGPR: 6
; COMPUTE_PGM_RSRC2:TRAP_HANDLER: 0
; COMPUTE_PGM_RSRC2:TGID_X_EN: 1
; COMPUTE_PGM_RSRC2:TGID_Y_EN: 1
; COMPUTE_PGM_RSRC2:TGID_Z_EN: 0
; COMPUTE_PGM_RSRC2:TIDIG_COMP_CNT: 1
	.section	.text._ZN8rajaperf9polybench14poly_3mm_1_lamILm32ELm8EZNS0_13POLYBENCH_3MM17runHipVariantImplILm256EEEvNS_9VariantIDEEUlllE_EEvllT1_,"axG",@progbits,_ZN8rajaperf9polybench14poly_3mm_1_lamILm32ELm8EZNS0_13POLYBENCH_3MM17runHipVariantImplILm256EEEvNS_9VariantIDEEUlllE_EEvllT1_,comdat
	.protected	_ZN8rajaperf9polybench14poly_3mm_1_lamILm32ELm8EZNS0_13POLYBENCH_3MM17runHipVariantImplILm256EEEvNS_9VariantIDEEUlllE_EEvllT1_ ; -- Begin function _ZN8rajaperf9polybench14poly_3mm_1_lamILm32ELm8EZNS0_13POLYBENCH_3MM17runHipVariantImplILm256EEEvNS_9VariantIDEEUlllE_EEvllT1_
	.globl	_ZN8rajaperf9polybench14poly_3mm_1_lamILm32ELm8EZNS0_13POLYBENCH_3MM17runHipVariantImplILm256EEEvNS_9VariantIDEEUlllE_EEvllT1_
	.p2align	8
	.type	_ZN8rajaperf9polybench14poly_3mm_1_lamILm32ELm8EZNS0_13POLYBENCH_3MM17runHipVariantImplILm256EEEvNS_9VariantIDEEUlllE_EEvllT1_,@function
_ZN8rajaperf9polybench14poly_3mm_1_lamILm32ELm8EZNS0_13POLYBENCH_3MM17runHipVariantImplILm256EEEvNS_9VariantIDEEUlllE_EEvllT1_: ; @_ZN8rajaperf9polybench14poly_3mm_1_lamILm32ELm8EZNS0_13POLYBENCH_3MM17runHipVariantImplILm256EEEvNS_9VariantIDEEUlllE_EEvllT1_
; %bb.0:
	s_mov_b32 s0, s7
	s_mov_b32 s1, 0
	s_load_dwordx8 s[8:15], s[4:5], 0x0
	s_lshl_b64 s[2:3], s[0:1], 3
	v_mov_b32_e32 v2, s3
	v_add_co_u32_e32 v1, vcc, s2, v1
	s_mov_b32 s7, s1
	v_addc_co_u32_e32 v2, vcc, 0, v2, vcc
	s_lshl_b64 s[0:1], s[6:7], 5
	v_mov_b32_e32 v4, s1
	v_add_co_u32_e32 v3, vcc, s0, v0
	v_addc_co_u32_e32 v4, vcc, 0, v4, vcc
	s_waitcnt lgkmcnt(0)
	v_cmp_gt_i64_e32 vcc, s[8:9], v[1:2]
	v_cmp_gt_i64_e64 s[0:1], s[10:11], v[3:4]
	s_and_b64 s[0:1], vcc, s[0:1]
	s_and_saveexec_b64 s[2:3], s[0:1]
	s_cbranch_execz .LBB3_6
; %bb.1:
	s_load_dwordx8 s[16:23], s[4:5], 0x20
	v_cmp_lt_i64_e64 s[0:1], s[12:13], 1
	v_lshlrev_b64 v[3:4], 3, v[3:4]
	s_and_b64 vcc, exec, s[0:1]
	s_cbranch_vccnz .LBB3_4
; %bb.2:
	v_mul_lo_u32 v0, s13, v1
	v_mul_lo_u32 v7, s12, v2
	v_mad_u64_u32 v[5:6], s[0:1], s12, v1, 0
	s_waitcnt lgkmcnt(0)
	s_lshl_b64 s[0:1], s[18:19], 3
	v_add3_u32 v6, v6, v7, v0
	v_lshlrev_b64 v[5:6], 3, v[5:6]
	v_mov_b32_e32 v0, s15
	v_add_co_u32_e32 v7, vcc, s14, v5
	v_addc_co_u32_e32 v8, vcc, v0, v6, vcc
	v_mov_b32_e32 v0, s17
	v_add_co_u32_e32 v9, vcc, s16, v3
	v_mov_b32_e32 v5, 0
	v_addc_co_u32_e32 v10, vcc, v0, v4, vcc
	v_mov_b32_e32 v6, 0
	v_mov_b32_e32 v0, s1
.LBB3_3:                                ; =>This Inner Loop Header: Depth=1
	global_load_dwordx2 v[11:12], v[7:8], off
	global_load_dwordx2 v[13:14], v[9:10], off
	v_add_co_u32_e32 v7, vcc, 8, v7
	v_addc_co_u32_e32 v8, vcc, 0, v8, vcc
	s_add_u32 s12, s12, -1
	v_add_co_u32_e32 v9, vcc, s0, v9
	s_addc_u32 s13, s13, -1
	s_cmp_lg_u64 s[12:13], 0
	v_addc_co_u32_e32 v10, vcc, v10, v0, vcc
	s_waitcnt vmcnt(0)
	v_fma_f64 v[5:6], v[11:12], v[13:14], v[5:6]
	s_cbranch_scc1 .LBB3_3
	s_branch .LBB3_5
.LBB3_4:
	v_mov_b32_e32 v5, 0
	v_mov_b32_e32 v6, 0
.LBB3_5:
	s_waitcnt lgkmcnt(0)
	v_mul_lo_u32 v7, s19, v1
	v_mul_lo_u32 v2, s18, v2
	v_mad_u64_u32 v[0:1], s[0:1], s18, v1, 0
	v_add_co_u32_e32 v3, vcc, s20, v3
	v_add3_u32 v1, v1, v2, v7
	v_mov_b32_e32 v2, s21
	v_lshlrev_b64 v[0:1], 3, v[0:1]
	v_addc_co_u32_e32 v2, vcc, v2, v4, vcc
	v_add_co_u32_e32 v0, vcc, v3, v0
	v_addc_co_u32_e32 v1, vcc, v2, v1, vcc
	global_store_dwordx2 v[0:1], v[5:6], off
.LBB3_6:
	s_endpgm
	.section	.rodata,"a",@progbits
	.p2align	6, 0x0
	.amdhsa_kernel _ZN8rajaperf9polybench14poly_3mm_1_lamILm32ELm8EZNS0_13POLYBENCH_3MM17runHipVariantImplILm256EEEvNS_9VariantIDEEUlllE_EEvllT1_
		.amdhsa_group_segment_fixed_size 0
		.amdhsa_private_segment_fixed_size 0
		.amdhsa_kernarg_size 56
		.amdhsa_user_sgpr_count 6
		.amdhsa_user_sgpr_private_segment_buffer 1
		.amdhsa_user_sgpr_dispatch_ptr 0
		.amdhsa_user_sgpr_queue_ptr 0
		.amdhsa_user_sgpr_kernarg_segment_ptr 1
		.amdhsa_user_sgpr_dispatch_id 0
		.amdhsa_user_sgpr_flat_scratch_init 0
		.amdhsa_user_sgpr_private_segment_size 0
		.amdhsa_uses_dynamic_stack 0
		.amdhsa_system_sgpr_private_segment_wavefront_offset 0
		.amdhsa_system_sgpr_workgroup_id_x 1
		.amdhsa_system_sgpr_workgroup_id_y 1
		.amdhsa_system_sgpr_workgroup_id_z 0
		.amdhsa_system_sgpr_workgroup_info 0
		.amdhsa_system_vgpr_workitem_id 1
		.amdhsa_next_free_vgpr 15
		.amdhsa_next_free_sgpr 24
		.amdhsa_reserve_vcc 1
		.amdhsa_reserve_flat_scratch 0
		.amdhsa_float_round_mode_32 0
		.amdhsa_float_round_mode_16_64 0
		.amdhsa_float_denorm_mode_32 3
		.amdhsa_float_denorm_mode_16_64 3
		.amdhsa_dx10_clamp 1
		.amdhsa_ieee_mode 1
		.amdhsa_fp16_overflow 0
		.amdhsa_exception_fp_ieee_invalid_op 0
		.amdhsa_exception_fp_denorm_src 0
		.amdhsa_exception_fp_ieee_div_zero 0
		.amdhsa_exception_fp_ieee_overflow 0
		.amdhsa_exception_fp_ieee_underflow 0
		.amdhsa_exception_fp_ieee_inexact 0
		.amdhsa_exception_int_div_zero 0
	.end_amdhsa_kernel
	.section	.text._ZN8rajaperf9polybench14poly_3mm_1_lamILm32ELm8EZNS0_13POLYBENCH_3MM17runHipVariantImplILm256EEEvNS_9VariantIDEEUlllE_EEvllT1_,"axG",@progbits,_ZN8rajaperf9polybench14poly_3mm_1_lamILm32ELm8EZNS0_13POLYBENCH_3MM17runHipVariantImplILm256EEEvNS_9VariantIDEEUlllE_EEvllT1_,comdat
.Lfunc_end3:
	.size	_ZN8rajaperf9polybench14poly_3mm_1_lamILm32ELm8EZNS0_13POLYBENCH_3MM17runHipVariantImplILm256EEEvNS_9VariantIDEEUlllE_EEvllT1_, .Lfunc_end3-_ZN8rajaperf9polybench14poly_3mm_1_lamILm32ELm8EZNS0_13POLYBENCH_3MM17runHipVariantImplILm256EEEvNS_9VariantIDEEUlllE_EEvllT1_
                                        ; -- End function
	.set _ZN8rajaperf9polybench14poly_3mm_1_lamILm32ELm8EZNS0_13POLYBENCH_3MM17runHipVariantImplILm256EEEvNS_9VariantIDEEUlllE_EEvllT1_.num_vgpr, 15
	.set _ZN8rajaperf9polybench14poly_3mm_1_lamILm32ELm8EZNS0_13POLYBENCH_3MM17runHipVariantImplILm256EEEvNS_9VariantIDEEUlllE_EEvllT1_.num_agpr, 0
	.set _ZN8rajaperf9polybench14poly_3mm_1_lamILm32ELm8EZNS0_13POLYBENCH_3MM17runHipVariantImplILm256EEEvNS_9VariantIDEEUlllE_EEvllT1_.numbered_sgpr, 24
	.set _ZN8rajaperf9polybench14poly_3mm_1_lamILm32ELm8EZNS0_13POLYBENCH_3MM17runHipVariantImplILm256EEEvNS_9VariantIDEEUlllE_EEvllT1_.num_named_barrier, 0
	.set _ZN8rajaperf9polybench14poly_3mm_1_lamILm32ELm8EZNS0_13POLYBENCH_3MM17runHipVariantImplILm256EEEvNS_9VariantIDEEUlllE_EEvllT1_.private_seg_size, 0
	.set _ZN8rajaperf9polybench14poly_3mm_1_lamILm32ELm8EZNS0_13POLYBENCH_3MM17runHipVariantImplILm256EEEvNS_9VariantIDEEUlllE_EEvllT1_.uses_vcc, 1
	.set _ZN8rajaperf9polybench14poly_3mm_1_lamILm32ELm8EZNS0_13POLYBENCH_3MM17runHipVariantImplILm256EEEvNS_9VariantIDEEUlllE_EEvllT1_.uses_flat_scratch, 0
	.set _ZN8rajaperf9polybench14poly_3mm_1_lamILm32ELm8EZNS0_13POLYBENCH_3MM17runHipVariantImplILm256EEEvNS_9VariantIDEEUlllE_EEvllT1_.has_dyn_sized_stack, 0
	.set _ZN8rajaperf9polybench14poly_3mm_1_lamILm32ELm8EZNS0_13POLYBENCH_3MM17runHipVariantImplILm256EEEvNS_9VariantIDEEUlllE_EEvllT1_.has_recursion, 0
	.set _ZN8rajaperf9polybench14poly_3mm_1_lamILm32ELm8EZNS0_13POLYBENCH_3MM17runHipVariantImplILm256EEEvNS_9VariantIDEEUlllE_EEvllT1_.has_indirect_call, 0
	.section	.AMDGPU.csdata,"",@progbits
; Kernel info:
; codeLenInByte = 344
; TotalNumSgprs: 28
; NumVgprs: 15
; ScratchSize: 0
; MemoryBound: 0
; FloatMode: 240
; IeeeMode: 1
; LDSByteSize: 0 bytes/workgroup (compile time only)
; SGPRBlocks: 3
; VGPRBlocks: 3
; NumSGPRsForWavesPerEU: 28
; NumVGPRsForWavesPerEU: 15
; Occupancy: 10
; WaveLimiterHint : 0
; COMPUTE_PGM_RSRC2:SCRATCH_EN: 0
; COMPUTE_PGM_RSRC2:USER_SGPR: 6
; COMPUTE_PGM_RSRC2:TRAP_HANDLER: 0
; COMPUTE_PGM_RSRC2:TGID_X_EN: 1
; COMPUTE_PGM_RSRC2:TGID_Y_EN: 1
; COMPUTE_PGM_RSRC2:TGID_Z_EN: 0
; COMPUTE_PGM_RSRC2:TIDIG_COMP_CNT: 1
	.section	.text._ZN8rajaperf9polybench14poly_3mm_2_lamILm32ELm8EZNS0_13POLYBENCH_3MM17runHipVariantImplILm256EEEvNS_9VariantIDEEUlllE0_EEvllT1_,"axG",@progbits,_ZN8rajaperf9polybench14poly_3mm_2_lamILm32ELm8EZNS0_13POLYBENCH_3MM17runHipVariantImplILm256EEEvNS_9VariantIDEEUlllE0_EEvllT1_,comdat
	.protected	_ZN8rajaperf9polybench14poly_3mm_2_lamILm32ELm8EZNS0_13POLYBENCH_3MM17runHipVariantImplILm256EEEvNS_9VariantIDEEUlllE0_EEvllT1_ ; -- Begin function _ZN8rajaperf9polybench14poly_3mm_2_lamILm32ELm8EZNS0_13POLYBENCH_3MM17runHipVariantImplILm256EEEvNS_9VariantIDEEUlllE0_EEvllT1_
	.globl	_ZN8rajaperf9polybench14poly_3mm_2_lamILm32ELm8EZNS0_13POLYBENCH_3MM17runHipVariantImplILm256EEEvNS_9VariantIDEEUlllE0_EEvllT1_
	.p2align	8
	.type	_ZN8rajaperf9polybench14poly_3mm_2_lamILm32ELm8EZNS0_13POLYBENCH_3MM17runHipVariantImplILm256EEEvNS_9VariantIDEEUlllE0_EEvllT1_,@function
_ZN8rajaperf9polybench14poly_3mm_2_lamILm32ELm8EZNS0_13POLYBENCH_3MM17runHipVariantImplILm256EEEvNS_9VariantIDEEUlllE0_EEvllT1_: ; @_ZN8rajaperf9polybench14poly_3mm_2_lamILm32ELm8EZNS0_13POLYBENCH_3MM17runHipVariantImplILm256EEEvNS_9VariantIDEEUlllE0_EEvllT1_
; %bb.0:
	s_mov_b32 s0, s7
	s_mov_b32 s1, 0
	s_load_dwordx8 s[8:15], s[4:5], 0x0
	s_lshl_b64 s[2:3], s[0:1], 3
	v_mov_b32_e32 v2, s3
	v_add_co_u32_e32 v1, vcc, s2, v1
	s_mov_b32 s7, s1
	v_addc_co_u32_e32 v2, vcc, 0, v2, vcc
	s_lshl_b64 s[0:1], s[6:7], 5
	v_mov_b32_e32 v4, s1
	v_add_co_u32_e32 v3, vcc, s0, v0
	v_addc_co_u32_e32 v4, vcc, 0, v4, vcc
	s_waitcnt lgkmcnt(0)
	v_cmp_gt_i64_e32 vcc, s[8:9], v[1:2]
	v_cmp_gt_i64_e64 s[0:1], s[10:11], v[3:4]
	s_and_b64 s[0:1], vcc, s[0:1]
	s_and_saveexec_b64 s[2:3], s[0:1]
	s_cbranch_execz .LBB4_6
; %bb.1:
	s_load_dwordx8 s[16:23], s[4:5], 0x20
	v_cmp_lt_i64_e64 s[0:1], s[12:13], 1
	v_lshlrev_b64 v[3:4], 3, v[3:4]
	s_and_b64 vcc, exec, s[0:1]
	s_cbranch_vccnz .LBB4_4
; %bb.2:
	v_mul_lo_u32 v0, s13, v1
	v_mul_lo_u32 v7, s12, v2
	v_mad_u64_u32 v[5:6], s[0:1], s12, v1, 0
	s_waitcnt lgkmcnt(0)
	s_lshl_b64 s[0:1], s[18:19], 3
	v_add3_u32 v6, v6, v7, v0
	v_lshlrev_b64 v[5:6], 3, v[5:6]
	v_mov_b32_e32 v0, s15
	v_add_co_u32_e32 v7, vcc, s14, v5
	v_addc_co_u32_e32 v8, vcc, v0, v6, vcc
	v_mov_b32_e32 v0, s17
	v_add_co_u32_e32 v9, vcc, s16, v3
	v_mov_b32_e32 v5, 0
	v_addc_co_u32_e32 v10, vcc, v0, v4, vcc
	v_mov_b32_e32 v6, 0
	v_mov_b32_e32 v0, s1
.LBB4_3:                                ; =>This Inner Loop Header: Depth=1
	global_load_dwordx2 v[11:12], v[7:8], off
	global_load_dwordx2 v[13:14], v[9:10], off
	v_add_co_u32_e32 v7, vcc, 8, v7
	v_addc_co_u32_e32 v8, vcc, 0, v8, vcc
	s_add_u32 s12, s12, -1
	v_add_co_u32_e32 v9, vcc, s0, v9
	s_addc_u32 s13, s13, -1
	s_cmp_lg_u64 s[12:13], 0
	v_addc_co_u32_e32 v10, vcc, v10, v0, vcc
	s_waitcnt vmcnt(0)
	v_fma_f64 v[5:6], v[11:12], v[13:14], v[5:6]
	s_cbranch_scc1 .LBB4_3
	s_branch .LBB4_5
.LBB4_4:
	v_mov_b32_e32 v5, 0
	v_mov_b32_e32 v6, 0
.LBB4_5:
	s_waitcnt lgkmcnt(0)
	v_mul_lo_u32 v7, s19, v1
	v_mul_lo_u32 v2, s18, v2
	v_mad_u64_u32 v[0:1], s[0:1], s18, v1, 0
	v_add_co_u32_e32 v3, vcc, s20, v3
	v_add3_u32 v1, v1, v2, v7
	v_mov_b32_e32 v2, s21
	v_lshlrev_b64 v[0:1], 3, v[0:1]
	v_addc_co_u32_e32 v2, vcc, v2, v4, vcc
	v_add_co_u32_e32 v0, vcc, v3, v0
	v_addc_co_u32_e32 v1, vcc, v2, v1, vcc
	global_store_dwordx2 v[0:1], v[5:6], off
.LBB4_6:
	s_endpgm
	.section	.rodata,"a",@progbits
	.p2align	6, 0x0
	.amdhsa_kernel _ZN8rajaperf9polybench14poly_3mm_2_lamILm32ELm8EZNS0_13POLYBENCH_3MM17runHipVariantImplILm256EEEvNS_9VariantIDEEUlllE0_EEvllT1_
		.amdhsa_group_segment_fixed_size 0
		.amdhsa_private_segment_fixed_size 0
		.amdhsa_kernarg_size 56
		.amdhsa_user_sgpr_count 6
		.amdhsa_user_sgpr_private_segment_buffer 1
		.amdhsa_user_sgpr_dispatch_ptr 0
		.amdhsa_user_sgpr_queue_ptr 0
		.amdhsa_user_sgpr_kernarg_segment_ptr 1
		.amdhsa_user_sgpr_dispatch_id 0
		.amdhsa_user_sgpr_flat_scratch_init 0
		.amdhsa_user_sgpr_private_segment_size 0
		.amdhsa_uses_dynamic_stack 0
		.amdhsa_system_sgpr_private_segment_wavefront_offset 0
		.amdhsa_system_sgpr_workgroup_id_x 1
		.amdhsa_system_sgpr_workgroup_id_y 1
		.amdhsa_system_sgpr_workgroup_id_z 0
		.amdhsa_system_sgpr_workgroup_info 0
		.amdhsa_system_vgpr_workitem_id 1
		.amdhsa_next_free_vgpr 15
		.amdhsa_next_free_sgpr 24
		.amdhsa_reserve_vcc 1
		.amdhsa_reserve_flat_scratch 0
		.amdhsa_float_round_mode_32 0
		.amdhsa_float_round_mode_16_64 0
		.amdhsa_float_denorm_mode_32 3
		.amdhsa_float_denorm_mode_16_64 3
		.amdhsa_dx10_clamp 1
		.amdhsa_ieee_mode 1
		.amdhsa_fp16_overflow 0
		.amdhsa_exception_fp_ieee_invalid_op 0
		.amdhsa_exception_fp_denorm_src 0
		.amdhsa_exception_fp_ieee_div_zero 0
		.amdhsa_exception_fp_ieee_overflow 0
		.amdhsa_exception_fp_ieee_underflow 0
		.amdhsa_exception_fp_ieee_inexact 0
		.amdhsa_exception_int_div_zero 0
	.end_amdhsa_kernel
	.section	.text._ZN8rajaperf9polybench14poly_3mm_2_lamILm32ELm8EZNS0_13POLYBENCH_3MM17runHipVariantImplILm256EEEvNS_9VariantIDEEUlllE0_EEvllT1_,"axG",@progbits,_ZN8rajaperf9polybench14poly_3mm_2_lamILm32ELm8EZNS0_13POLYBENCH_3MM17runHipVariantImplILm256EEEvNS_9VariantIDEEUlllE0_EEvllT1_,comdat
.Lfunc_end4:
	.size	_ZN8rajaperf9polybench14poly_3mm_2_lamILm32ELm8EZNS0_13POLYBENCH_3MM17runHipVariantImplILm256EEEvNS_9VariantIDEEUlllE0_EEvllT1_, .Lfunc_end4-_ZN8rajaperf9polybench14poly_3mm_2_lamILm32ELm8EZNS0_13POLYBENCH_3MM17runHipVariantImplILm256EEEvNS_9VariantIDEEUlllE0_EEvllT1_
                                        ; -- End function
	.set _ZN8rajaperf9polybench14poly_3mm_2_lamILm32ELm8EZNS0_13POLYBENCH_3MM17runHipVariantImplILm256EEEvNS_9VariantIDEEUlllE0_EEvllT1_.num_vgpr, 15
	.set _ZN8rajaperf9polybench14poly_3mm_2_lamILm32ELm8EZNS0_13POLYBENCH_3MM17runHipVariantImplILm256EEEvNS_9VariantIDEEUlllE0_EEvllT1_.num_agpr, 0
	.set _ZN8rajaperf9polybench14poly_3mm_2_lamILm32ELm8EZNS0_13POLYBENCH_3MM17runHipVariantImplILm256EEEvNS_9VariantIDEEUlllE0_EEvllT1_.numbered_sgpr, 24
	.set _ZN8rajaperf9polybench14poly_3mm_2_lamILm32ELm8EZNS0_13POLYBENCH_3MM17runHipVariantImplILm256EEEvNS_9VariantIDEEUlllE0_EEvllT1_.num_named_barrier, 0
	.set _ZN8rajaperf9polybench14poly_3mm_2_lamILm32ELm8EZNS0_13POLYBENCH_3MM17runHipVariantImplILm256EEEvNS_9VariantIDEEUlllE0_EEvllT1_.private_seg_size, 0
	.set _ZN8rajaperf9polybench14poly_3mm_2_lamILm32ELm8EZNS0_13POLYBENCH_3MM17runHipVariantImplILm256EEEvNS_9VariantIDEEUlllE0_EEvllT1_.uses_vcc, 1
	.set _ZN8rajaperf9polybench14poly_3mm_2_lamILm32ELm8EZNS0_13POLYBENCH_3MM17runHipVariantImplILm256EEEvNS_9VariantIDEEUlllE0_EEvllT1_.uses_flat_scratch, 0
	.set _ZN8rajaperf9polybench14poly_3mm_2_lamILm32ELm8EZNS0_13POLYBENCH_3MM17runHipVariantImplILm256EEEvNS_9VariantIDEEUlllE0_EEvllT1_.has_dyn_sized_stack, 0
	.set _ZN8rajaperf9polybench14poly_3mm_2_lamILm32ELm8EZNS0_13POLYBENCH_3MM17runHipVariantImplILm256EEEvNS_9VariantIDEEUlllE0_EEvllT1_.has_recursion, 0
	.set _ZN8rajaperf9polybench14poly_3mm_2_lamILm32ELm8EZNS0_13POLYBENCH_3MM17runHipVariantImplILm256EEEvNS_9VariantIDEEUlllE0_EEvllT1_.has_indirect_call, 0
	.section	.AMDGPU.csdata,"",@progbits
; Kernel info:
; codeLenInByte = 344
; TotalNumSgprs: 28
; NumVgprs: 15
; ScratchSize: 0
; MemoryBound: 0
; FloatMode: 240
; IeeeMode: 1
; LDSByteSize: 0 bytes/workgroup (compile time only)
; SGPRBlocks: 3
; VGPRBlocks: 3
; NumSGPRsForWavesPerEU: 28
; NumVGPRsForWavesPerEU: 15
; Occupancy: 10
; WaveLimiterHint : 0
; COMPUTE_PGM_RSRC2:SCRATCH_EN: 0
; COMPUTE_PGM_RSRC2:USER_SGPR: 6
; COMPUTE_PGM_RSRC2:TRAP_HANDLER: 0
; COMPUTE_PGM_RSRC2:TGID_X_EN: 1
; COMPUTE_PGM_RSRC2:TGID_Y_EN: 1
; COMPUTE_PGM_RSRC2:TGID_Z_EN: 0
; COMPUTE_PGM_RSRC2:TIDIG_COMP_CNT: 1
	.section	.text._ZN8rajaperf9polybench14poly_3mm_3_lamILm32ELm8EZNS0_13POLYBENCH_3MM17runHipVariantImplILm256EEEvNS_9VariantIDEEUlllE1_EEvllT1_,"axG",@progbits,_ZN8rajaperf9polybench14poly_3mm_3_lamILm32ELm8EZNS0_13POLYBENCH_3MM17runHipVariantImplILm256EEEvNS_9VariantIDEEUlllE1_EEvllT1_,comdat
	.protected	_ZN8rajaperf9polybench14poly_3mm_3_lamILm32ELm8EZNS0_13POLYBENCH_3MM17runHipVariantImplILm256EEEvNS_9VariantIDEEUlllE1_EEvllT1_ ; -- Begin function _ZN8rajaperf9polybench14poly_3mm_3_lamILm32ELm8EZNS0_13POLYBENCH_3MM17runHipVariantImplILm256EEEvNS_9VariantIDEEUlllE1_EEvllT1_
	.globl	_ZN8rajaperf9polybench14poly_3mm_3_lamILm32ELm8EZNS0_13POLYBENCH_3MM17runHipVariantImplILm256EEEvNS_9VariantIDEEUlllE1_EEvllT1_
	.p2align	8
	.type	_ZN8rajaperf9polybench14poly_3mm_3_lamILm32ELm8EZNS0_13POLYBENCH_3MM17runHipVariantImplILm256EEEvNS_9VariantIDEEUlllE1_EEvllT1_,@function
_ZN8rajaperf9polybench14poly_3mm_3_lamILm32ELm8EZNS0_13POLYBENCH_3MM17runHipVariantImplILm256EEEvNS_9VariantIDEEUlllE1_EEvllT1_: ; @_ZN8rajaperf9polybench14poly_3mm_3_lamILm32ELm8EZNS0_13POLYBENCH_3MM17runHipVariantImplILm256EEEvNS_9VariantIDEEUlllE1_EEvllT1_
; %bb.0:
	s_mov_b32 s0, s7
	s_mov_b32 s1, 0
	s_load_dwordx8 s[8:15], s[4:5], 0x0
	s_lshl_b64 s[2:3], s[0:1], 3
	v_mov_b32_e32 v2, s3
	v_add_co_u32_e32 v1, vcc, s2, v1
	s_mov_b32 s7, s1
	v_addc_co_u32_e32 v2, vcc, 0, v2, vcc
	s_lshl_b64 s[0:1], s[6:7], 5
	v_mov_b32_e32 v4, s1
	v_add_co_u32_e32 v3, vcc, s0, v0
	v_addc_co_u32_e32 v4, vcc, 0, v4, vcc
	s_waitcnt lgkmcnt(0)
	v_cmp_gt_i64_e32 vcc, s[8:9], v[1:2]
	v_cmp_gt_i64_e64 s[0:1], s[10:11], v[3:4]
	s_and_b64 s[0:1], vcc, s[0:1]
	s_and_saveexec_b64 s[2:3], s[0:1]
	s_cbranch_execz .LBB5_6
; %bb.1:
	s_load_dwordx8 s[16:23], s[4:5], 0x20
	v_cmp_lt_i64_e64 s[0:1], s[12:13], 1
	v_lshlrev_b64 v[3:4], 3, v[3:4]
	s_and_b64 vcc, exec, s[0:1]
	s_cbranch_vccnz .LBB5_4
; %bb.2:
	v_mul_lo_u32 v0, s13, v1
	v_mul_lo_u32 v7, s12, v2
	v_mad_u64_u32 v[5:6], s[0:1], s12, v1, 0
	s_waitcnt lgkmcnt(0)
	s_lshl_b64 s[0:1], s[18:19], 3
	v_add3_u32 v6, v6, v7, v0
	v_lshlrev_b64 v[5:6], 3, v[5:6]
	v_mov_b32_e32 v0, s15
	v_add_co_u32_e32 v7, vcc, s14, v5
	v_addc_co_u32_e32 v8, vcc, v0, v6, vcc
	v_mov_b32_e32 v0, s17
	v_add_co_u32_e32 v9, vcc, s16, v3
	v_mov_b32_e32 v5, 0
	v_addc_co_u32_e32 v10, vcc, v0, v4, vcc
	v_mov_b32_e32 v6, 0
	v_mov_b32_e32 v0, s1
.LBB5_3:                                ; =>This Inner Loop Header: Depth=1
	global_load_dwordx2 v[11:12], v[7:8], off
	global_load_dwordx2 v[13:14], v[9:10], off
	v_add_co_u32_e32 v7, vcc, 8, v7
	v_addc_co_u32_e32 v8, vcc, 0, v8, vcc
	s_add_u32 s12, s12, -1
	v_add_co_u32_e32 v9, vcc, s0, v9
	s_addc_u32 s13, s13, -1
	s_cmp_lg_u64 s[12:13], 0
	v_addc_co_u32_e32 v10, vcc, v10, v0, vcc
	s_waitcnt vmcnt(0)
	v_fma_f64 v[5:6], v[11:12], v[13:14], v[5:6]
	s_cbranch_scc1 .LBB5_3
	s_branch .LBB5_5
.LBB5_4:
	v_mov_b32_e32 v5, 0
	v_mov_b32_e32 v6, 0
.LBB5_5:
	s_waitcnt lgkmcnt(0)
	v_mul_lo_u32 v7, s19, v1
	v_mul_lo_u32 v2, s18, v2
	v_mad_u64_u32 v[0:1], s[0:1], s18, v1, 0
	v_add_co_u32_e32 v3, vcc, s20, v3
	v_add3_u32 v1, v1, v2, v7
	v_mov_b32_e32 v2, s21
	v_lshlrev_b64 v[0:1], 3, v[0:1]
	v_addc_co_u32_e32 v2, vcc, v2, v4, vcc
	v_add_co_u32_e32 v0, vcc, v3, v0
	v_addc_co_u32_e32 v1, vcc, v2, v1, vcc
	global_store_dwordx2 v[0:1], v[5:6], off
.LBB5_6:
	s_endpgm
	.section	.rodata,"a",@progbits
	.p2align	6, 0x0
	.amdhsa_kernel _ZN8rajaperf9polybench14poly_3mm_3_lamILm32ELm8EZNS0_13POLYBENCH_3MM17runHipVariantImplILm256EEEvNS_9VariantIDEEUlllE1_EEvllT1_
		.amdhsa_group_segment_fixed_size 0
		.amdhsa_private_segment_fixed_size 0
		.amdhsa_kernarg_size 56
		.amdhsa_user_sgpr_count 6
		.amdhsa_user_sgpr_private_segment_buffer 1
		.amdhsa_user_sgpr_dispatch_ptr 0
		.amdhsa_user_sgpr_queue_ptr 0
		.amdhsa_user_sgpr_kernarg_segment_ptr 1
		.amdhsa_user_sgpr_dispatch_id 0
		.amdhsa_user_sgpr_flat_scratch_init 0
		.amdhsa_user_sgpr_private_segment_size 0
		.amdhsa_uses_dynamic_stack 0
		.amdhsa_system_sgpr_private_segment_wavefront_offset 0
		.amdhsa_system_sgpr_workgroup_id_x 1
		.amdhsa_system_sgpr_workgroup_id_y 1
		.amdhsa_system_sgpr_workgroup_id_z 0
		.amdhsa_system_sgpr_workgroup_info 0
		.amdhsa_system_vgpr_workitem_id 1
		.amdhsa_next_free_vgpr 15
		.amdhsa_next_free_sgpr 24
		.amdhsa_reserve_vcc 1
		.amdhsa_reserve_flat_scratch 0
		.amdhsa_float_round_mode_32 0
		.amdhsa_float_round_mode_16_64 0
		.amdhsa_float_denorm_mode_32 3
		.amdhsa_float_denorm_mode_16_64 3
		.amdhsa_dx10_clamp 1
		.amdhsa_ieee_mode 1
		.amdhsa_fp16_overflow 0
		.amdhsa_exception_fp_ieee_invalid_op 0
		.amdhsa_exception_fp_denorm_src 0
		.amdhsa_exception_fp_ieee_div_zero 0
		.amdhsa_exception_fp_ieee_overflow 0
		.amdhsa_exception_fp_ieee_underflow 0
		.amdhsa_exception_fp_ieee_inexact 0
		.amdhsa_exception_int_div_zero 0
	.end_amdhsa_kernel
	.section	.text._ZN8rajaperf9polybench14poly_3mm_3_lamILm32ELm8EZNS0_13POLYBENCH_3MM17runHipVariantImplILm256EEEvNS_9VariantIDEEUlllE1_EEvllT1_,"axG",@progbits,_ZN8rajaperf9polybench14poly_3mm_3_lamILm32ELm8EZNS0_13POLYBENCH_3MM17runHipVariantImplILm256EEEvNS_9VariantIDEEUlllE1_EEvllT1_,comdat
.Lfunc_end5:
	.size	_ZN8rajaperf9polybench14poly_3mm_3_lamILm32ELm8EZNS0_13POLYBENCH_3MM17runHipVariantImplILm256EEEvNS_9VariantIDEEUlllE1_EEvllT1_, .Lfunc_end5-_ZN8rajaperf9polybench14poly_3mm_3_lamILm32ELm8EZNS0_13POLYBENCH_3MM17runHipVariantImplILm256EEEvNS_9VariantIDEEUlllE1_EEvllT1_
                                        ; -- End function
	.set _ZN8rajaperf9polybench14poly_3mm_3_lamILm32ELm8EZNS0_13POLYBENCH_3MM17runHipVariantImplILm256EEEvNS_9VariantIDEEUlllE1_EEvllT1_.num_vgpr, 15
	.set _ZN8rajaperf9polybench14poly_3mm_3_lamILm32ELm8EZNS0_13POLYBENCH_3MM17runHipVariantImplILm256EEEvNS_9VariantIDEEUlllE1_EEvllT1_.num_agpr, 0
	.set _ZN8rajaperf9polybench14poly_3mm_3_lamILm32ELm8EZNS0_13POLYBENCH_3MM17runHipVariantImplILm256EEEvNS_9VariantIDEEUlllE1_EEvllT1_.numbered_sgpr, 24
	.set _ZN8rajaperf9polybench14poly_3mm_3_lamILm32ELm8EZNS0_13POLYBENCH_3MM17runHipVariantImplILm256EEEvNS_9VariantIDEEUlllE1_EEvllT1_.num_named_barrier, 0
	.set _ZN8rajaperf9polybench14poly_3mm_3_lamILm32ELm8EZNS0_13POLYBENCH_3MM17runHipVariantImplILm256EEEvNS_9VariantIDEEUlllE1_EEvllT1_.private_seg_size, 0
	.set _ZN8rajaperf9polybench14poly_3mm_3_lamILm32ELm8EZNS0_13POLYBENCH_3MM17runHipVariantImplILm256EEEvNS_9VariantIDEEUlllE1_EEvllT1_.uses_vcc, 1
	.set _ZN8rajaperf9polybench14poly_3mm_3_lamILm32ELm8EZNS0_13POLYBENCH_3MM17runHipVariantImplILm256EEEvNS_9VariantIDEEUlllE1_EEvllT1_.uses_flat_scratch, 0
	.set _ZN8rajaperf9polybench14poly_3mm_3_lamILm32ELm8EZNS0_13POLYBENCH_3MM17runHipVariantImplILm256EEEvNS_9VariantIDEEUlllE1_EEvllT1_.has_dyn_sized_stack, 0
	.set _ZN8rajaperf9polybench14poly_3mm_3_lamILm32ELm8EZNS0_13POLYBENCH_3MM17runHipVariantImplILm256EEEvNS_9VariantIDEEUlllE1_EEvllT1_.has_recursion, 0
	.set _ZN8rajaperf9polybench14poly_3mm_3_lamILm32ELm8EZNS0_13POLYBENCH_3MM17runHipVariantImplILm256EEEvNS_9VariantIDEEUlllE1_EEvllT1_.has_indirect_call, 0
	.section	.AMDGPU.csdata,"",@progbits
; Kernel info:
; codeLenInByte = 344
; TotalNumSgprs: 28
; NumVgprs: 15
; ScratchSize: 0
; MemoryBound: 0
; FloatMode: 240
; IeeeMode: 1
; LDSByteSize: 0 bytes/workgroup (compile time only)
; SGPRBlocks: 3
; VGPRBlocks: 3
; NumSGPRsForWavesPerEU: 28
; NumVGPRsForWavesPerEU: 15
; Occupancy: 10
; WaveLimiterHint : 0
; COMPUTE_PGM_RSRC2:SCRATCH_EN: 0
; COMPUTE_PGM_RSRC2:USER_SGPR: 6
; COMPUTE_PGM_RSRC2:TRAP_HANDLER: 0
; COMPUTE_PGM_RSRC2:TGID_X_EN: 1
; COMPUTE_PGM_RSRC2:TGID_Y_EN: 1
; COMPUTE_PGM_RSRC2:TGID_Z_EN: 0
; COMPUTE_PGM_RSRC2:TIDIG_COMP_CNT: 1
	.section	.text._ZN4RAJA8internal22HipKernelLauncherFixedILi256ENS0_8LoopDataIN4camp5tupleIJNS_4SpanINS_9Iterators16numeric_iteratorIllPlEElEESA_SA_EEENS4_IJdEEENS3_9resources2v13HipEJZN8rajaperf9polybench13POLYBENCH_3MM17runHipVariantImplILm256EEEvNSG_9VariantIDEEUlRdE_ZNSJ_ILm256EEEvSK_EUllllSL_E_ZNSJ_ILm256EEEvSK_EUlllSL_E_EEENS0_24HipStatementListExecutorISP_NS3_4listIJNS_9statement3ForILl0ENS_6policy3hip11hip_indexerINS_17iteration_mapping6DirectELNS_23kernel_sync_requirementE0EJNS_3hip11IndexGlobalILNS_9named_dimE1ELi8ELi0EEEEEEJNST_ILl1ENSW_ISY_LSZ_0EJNS11_ILS12_0ELi32ELi0EEEEEEJNSS_6LambdaILl0EJNSR_IJNS0_9LambdaArgINS0_18lambda_arg_param_tELl0EEEEEEEEENST_ILl2ENSU_10sequential8seq_execEJNS17_ILl1EJNSR_IJNS18_INS0_16lambda_arg_seg_tELl0EEENS18_IS1F_Ll1EEENS18_IS1F_Ll2EEEEEES1B_EEEEEENS17_ILl2EJNSR_IJS1G_S1H_EEES1B_EEEEEEEEEEEENS0_9LoopTypesINSR_IJvvvEEES1S_EEEEEEvT0_,"axG",@progbits,_ZN4RAJA8internal22HipKernelLauncherFixedILi256ENS0_8LoopDataIN4camp5tupleIJNS_4SpanINS_9Iterators16numeric_iteratorIllPlEElEESA_SA_EEENS4_IJdEEENS3_9resources2v13HipEJZN8rajaperf9polybench13POLYBENCH_3MM17runHipVariantImplILm256EEEvNSG_9VariantIDEEUlRdE_ZNSJ_ILm256EEEvSK_EUllllSL_E_ZNSJ_ILm256EEEvSK_EUlllSL_E_EEENS0_24HipStatementListExecutorISP_NS3_4listIJNS_9statement3ForILl0ENS_6policy3hip11hip_indexerINS_17iteration_mapping6DirectELNS_23kernel_sync_requirementE0EJNS_3hip11IndexGlobalILNS_9named_dimE1ELi8ELi0EEEEEEJNST_ILl1ENSW_ISY_LSZ_0EJNS11_ILS12_0ELi32ELi0EEEEEEJNSS_6LambdaILl0EJNSR_IJNS0_9LambdaArgINS0_18lambda_arg_param_tELl0EEEEEEEEENST_ILl2ENSU_10sequential8seq_execEJNS17_ILl1EJNSR_IJNS18_INS0_16lambda_arg_seg_tELl0EEENS18_IS1F_Ll1EEENS18_IS1F_Ll2EEEEEES1B_EEEEEENS17_ILl2EJNSR_IJS1G_S1H_EEES1B_EEEEEEEEEEEENS0_9LoopTypesINSR_IJvvvEEES1S_EEEEEEvT0_,comdat
	.protected	_ZN4RAJA8internal22HipKernelLauncherFixedILi256ENS0_8LoopDataIN4camp5tupleIJNS_4SpanINS_9Iterators16numeric_iteratorIllPlEElEESA_SA_EEENS4_IJdEEENS3_9resources2v13HipEJZN8rajaperf9polybench13POLYBENCH_3MM17runHipVariantImplILm256EEEvNSG_9VariantIDEEUlRdE_ZNSJ_ILm256EEEvSK_EUllllSL_E_ZNSJ_ILm256EEEvSK_EUlllSL_E_EEENS0_24HipStatementListExecutorISP_NS3_4listIJNS_9statement3ForILl0ENS_6policy3hip11hip_indexerINS_17iteration_mapping6DirectELNS_23kernel_sync_requirementE0EJNS_3hip11IndexGlobalILNS_9named_dimE1ELi8ELi0EEEEEEJNST_ILl1ENSW_ISY_LSZ_0EJNS11_ILS12_0ELi32ELi0EEEEEEJNSS_6LambdaILl0EJNSR_IJNS0_9LambdaArgINS0_18lambda_arg_param_tELl0EEEEEEEEENST_ILl2ENSU_10sequential8seq_execEJNS17_ILl1EJNSR_IJNS18_INS0_16lambda_arg_seg_tELl0EEENS18_IS1F_Ll1EEENS18_IS1F_Ll2EEEEEES1B_EEEEEENS17_ILl2EJNSR_IJS1G_S1H_EEES1B_EEEEEEEEEEEENS0_9LoopTypesINSR_IJvvvEEES1S_EEEEEEvT0_ ; -- Begin function _ZN4RAJA8internal22HipKernelLauncherFixedILi256ENS0_8LoopDataIN4camp5tupleIJNS_4SpanINS_9Iterators16numeric_iteratorIllPlEElEESA_SA_EEENS4_IJdEEENS3_9resources2v13HipEJZN8rajaperf9polybench13POLYBENCH_3MM17runHipVariantImplILm256EEEvNSG_9VariantIDEEUlRdE_ZNSJ_ILm256EEEvSK_EUllllSL_E_ZNSJ_ILm256EEEvSK_EUlllSL_E_EEENS0_24HipStatementListExecutorISP_NS3_4listIJNS_9statement3ForILl0ENS_6policy3hip11hip_indexerINS_17iteration_mapping6DirectELNS_23kernel_sync_requirementE0EJNS_3hip11IndexGlobalILNS_9named_dimE1ELi8ELi0EEEEEEJNST_ILl1ENSW_ISY_LSZ_0EJNS11_ILS12_0ELi32ELi0EEEEEEJNSS_6LambdaILl0EJNSR_IJNS0_9LambdaArgINS0_18lambda_arg_param_tELl0EEEEEEEEENST_ILl2ENSU_10sequential8seq_execEJNS17_ILl1EJNSR_IJNS18_INS0_16lambda_arg_seg_tELl0EEENS18_IS1F_Ll1EEENS18_IS1F_Ll2EEEEEES1B_EEEEEENS17_ILl2EJNSR_IJS1G_S1H_EEES1B_EEEEEEEEEEEENS0_9LoopTypesINSR_IJvvvEEES1S_EEEEEEvT0_
	.globl	_ZN4RAJA8internal22HipKernelLauncherFixedILi256ENS0_8LoopDataIN4camp5tupleIJNS_4SpanINS_9Iterators16numeric_iteratorIllPlEElEESA_SA_EEENS4_IJdEEENS3_9resources2v13HipEJZN8rajaperf9polybench13POLYBENCH_3MM17runHipVariantImplILm256EEEvNSG_9VariantIDEEUlRdE_ZNSJ_ILm256EEEvSK_EUllllSL_E_ZNSJ_ILm256EEEvSK_EUlllSL_E_EEENS0_24HipStatementListExecutorISP_NS3_4listIJNS_9statement3ForILl0ENS_6policy3hip11hip_indexerINS_17iteration_mapping6DirectELNS_23kernel_sync_requirementE0EJNS_3hip11IndexGlobalILNS_9named_dimE1ELi8ELi0EEEEEEJNST_ILl1ENSW_ISY_LSZ_0EJNS11_ILS12_0ELi32ELi0EEEEEEJNSS_6LambdaILl0EJNSR_IJNS0_9LambdaArgINS0_18lambda_arg_param_tELl0EEEEEEEEENST_ILl2ENSU_10sequential8seq_execEJNS17_ILl1EJNSR_IJNS18_INS0_16lambda_arg_seg_tELl0EEENS18_IS1F_Ll1EEENS18_IS1F_Ll2EEEEEES1B_EEEEEENS17_ILl2EJNSR_IJS1G_S1H_EEES1B_EEEEEEEEEEEENS0_9LoopTypesINSR_IJvvvEEES1S_EEEEEEvT0_
	.p2align	8
	.type	_ZN4RAJA8internal22HipKernelLauncherFixedILi256ENS0_8LoopDataIN4camp5tupleIJNS_4SpanINS_9Iterators16numeric_iteratorIllPlEElEESA_SA_EEENS4_IJdEEENS3_9resources2v13HipEJZN8rajaperf9polybench13POLYBENCH_3MM17runHipVariantImplILm256EEEvNSG_9VariantIDEEUlRdE_ZNSJ_ILm256EEEvSK_EUllllSL_E_ZNSJ_ILm256EEEvSK_EUlllSL_E_EEENS0_24HipStatementListExecutorISP_NS3_4listIJNS_9statement3ForILl0ENS_6policy3hip11hip_indexerINS_17iteration_mapping6DirectELNS_23kernel_sync_requirementE0EJNS_3hip11IndexGlobalILNS_9named_dimE1ELi8ELi0EEEEEEJNST_ILl1ENSW_ISY_LSZ_0EJNS11_ILS12_0ELi32ELi0EEEEEEJNSS_6LambdaILl0EJNSR_IJNS0_9LambdaArgINS0_18lambda_arg_param_tELl0EEEEEEEEENST_ILl2ENSU_10sequential8seq_execEJNS17_ILl1EJNSR_IJNS18_INS0_16lambda_arg_seg_tELl0EEENS18_IS1F_Ll1EEENS18_IS1F_Ll2EEEEEES1B_EEEEEENS17_ILl2EJNSR_IJS1G_S1H_EEES1B_EEEEEEEEEEEENS0_9LoopTypesINSR_IJvvvEEES1S_EEEEEEvT0_,@function
_ZN4RAJA8internal22HipKernelLauncherFixedILi256ENS0_8LoopDataIN4camp5tupleIJNS_4SpanINS_9Iterators16numeric_iteratorIllPlEElEESA_SA_EEENS4_IJdEEENS3_9resources2v13HipEJZN8rajaperf9polybench13POLYBENCH_3MM17runHipVariantImplILm256EEEvNSG_9VariantIDEEUlRdE_ZNSJ_ILm256EEEvSK_EUllllSL_E_ZNSJ_ILm256EEEvSK_EUlllSL_E_EEENS0_24HipStatementListExecutorISP_NS3_4listIJNS_9statement3ForILl0ENS_6policy3hip11hip_indexerINS_17iteration_mapping6DirectELNS_23kernel_sync_requirementE0EJNS_3hip11IndexGlobalILNS_9named_dimE1ELi8ELi0EEEEEEJNST_ILl1ENSW_ISY_LSZ_0EJNS11_ILS12_0ELi32ELi0EEEEEEJNSS_6LambdaILl0EJNSR_IJNS0_9LambdaArgINS0_18lambda_arg_param_tELl0EEEEEEEEENST_ILl2ENSU_10sequential8seq_execEJNS17_ILl1EJNSR_IJNS18_INS0_16lambda_arg_seg_tELl0EEENS18_IS1F_Ll1EEENS18_IS1F_Ll2EEEEEES1B_EEEEEENS17_ILl2EJNSR_IJS1G_S1H_EEES1B_EEEEEEEEEEEENS0_9LoopTypesINSR_IJvvvEEES1S_EEEEEEvT0_: ; @_ZN4RAJA8internal22HipKernelLauncherFixedILi256ENS0_8LoopDataIN4camp5tupleIJNS_4SpanINS_9Iterators16numeric_iteratorIllPlEElEESA_SA_EEENS4_IJdEEENS3_9resources2v13HipEJZN8rajaperf9polybench13POLYBENCH_3MM17runHipVariantImplILm256EEEvNSG_9VariantIDEEUlRdE_ZNSJ_ILm256EEEvSK_EUllllSL_E_ZNSJ_ILm256EEEvSK_EUlllSL_E_EEENS0_24HipStatementListExecutorISP_NS3_4listIJNS_9statement3ForILl0ENS_6policy3hip11hip_indexerINS_17iteration_mapping6DirectELNS_23kernel_sync_requirementE0EJNS_3hip11IndexGlobalILNS_9named_dimE1ELi8ELi0EEEEEEJNST_ILl1ENSW_ISY_LSZ_0EJNS11_ILS12_0ELi32ELi0EEEEEEJNSS_6LambdaILl0EJNSR_IJNS0_9LambdaArgINS0_18lambda_arg_param_tELl0EEEEEEEEENST_ILl2ENSU_10sequential8seq_execEJNS17_ILl1EJNSR_IJNS18_INS0_16lambda_arg_seg_tELl0EEENS18_IS1F_Ll1EEENS18_IS1F_Ll2EEEEEES1B_EEEEEENS17_ILl2EJNSR_IJS1G_S1H_EEES1B_EEEEEEEEEEEENS0_9LoopTypesINSR_IJvvvEEES1S_EEEEEEvT0_
; %bb.0:
	s_load_dwordx8 s[8:15], s[4:5], 0x0
	s_load_dwordx4 s[16:19], s[4:5], 0x20
	s_load_dwordx2 s[22:23], s[4:5], 0x30
	s_load_dwordx2 s[2:3], s[4:5], 0xd8
	;; [unrolled: 1-line block ×3, first 2 shown]
	s_mov_b32 s0, s7
	s_waitcnt lgkmcnt(0)
	s_sub_u32 s10, s10, s8
	s_mov_b32 s1, 0
	s_subb_u32 s11, s11, s9
	s_lshl_b64 s[24:25], s[0:1], 3
	v_mov_b32_e32 v2, s25
	v_add_co_u32_e32 v1, vcc, s24, v1
	v_addc_co_u32_e32 v2, vcc, 0, v2, vcc
	v_cmp_gt_i64_e32 vcc, s[10:11], v[1:2]
	s_sub_u32 s10, s14, s12
	s_mov_b32 s7, s1
	s_subb_u32 s11, s15, s13
	s_lshl_b64 s[0:1], s[6:7], 5
	v_mov_b32_e32 v3, s1
	v_add_co_u32_e64 v5, s[0:1], s0, v0
	v_addc_co_u32_e64 v6, s[0:1], 0, v3, s[0:1]
	v_cmp_gt_i64_e64 s[0:1], s[10:11], v[5:6]
	v_mov_b32_e32 v3, s23
	s_and_b64 s[10:11], vcc, s[0:1]
	s_sub_u32 s14, s18, s16
	s_subb_u32 s15, s19, s17
	v_cmp_lt_i64_e64 s[0:1], s[14:15], 1
	v_cndmask_b32_e64 v4, v3, 0, s[10:11]
	v_mov_b32_e32 v3, s22
	v_cndmask_b32_e64 v3, v3, 0, s[10:11]
	s_and_b64 vcc, exec, s[0:1]
	s_cbranch_vccnz .LBB6_5
; %bb.1:
	s_load_dwordx2 s[0:1], s[4:5], 0x60
	v_mov_b32_e32 v7, s9
	v_add_co_u32_e32 v8, vcc, s8, v1
	v_addc_co_u32_e32 v7, vcc, v7, v2, vcc
	s_waitcnt lgkmcnt(0)
	v_mul_lo_u32 v9, s1, v8
	v_mul_lo_u32 v10, s0, v7
	v_mad_u64_u32 v[7:8], s[0:1], s0, v8, 0
	s_load_dwordx2 s[0:1], s[4:5], 0x48
	s_load_dwordx2 s[18:19], s[4:5], 0xa8
	;; [unrolled: 1-line block ×3, first 2 shown]
	s_lshl_b64 s[4:5], s[16:17], 3
	v_add3_u32 v8, v8, v10, v9
	v_lshlrev_b64 v[7:8], 3, v[7:8]
	s_waitcnt lgkmcnt(0)
	s_add_u32 s0, s0, s4
	s_addc_u32 s1, s1, s5
	v_mov_b32_e32 v9, s1
	v_add_co_u32_e32 v7, vcc, s0, v7
	s_mul_i32 s0, s16, s19
	s_mul_hi_u32 s1, s16, s18
	s_add_i32 s0, s1, s0
	s_mul_i32 s1, s17, s18
	s_add_i32 s1, s0, s1
	s_mul_i32 s0, s16, s18
	s_lshl_b64 s[0:1], s[0:1], 3
	s_lshl_b64 s[4:5], s[6:7], 8
	s_add_u32 s4, s0, s4
	s_addc_u32 s5, s1, s5
	s_lshl_b64 s[0:1], s[12:13], 3
	s_add_u32 s0, s4, s0
	s_addc_u32 s1, s5, s1
	s_add_u32 s0, s22, s0
	v_addc_co_u32_e32 v8, vcc, v9, v8, vcc
	v_lshlrev_b32_e32 v0, 3, v0
	s_addc_u32 s1, s23, s1
	v_mov_b32_e32 v10, s1
	v_add_co_u32_e32 v9, vcc, s0, v0
	v_addc_co_u32_e32 v10, vcc, 0, v10, vcc
	s_lshl_b64 s[4:5], s[18:19], 3
	s_mov_b64 s[6:7], 0
	s_branch .LBB6_3
.LBB6_2:                                ;   in Loop: Header=BB6_3 Depth=1
	s_or_b64 exec, exec, s[0:1]
	s_add_u32 s6, s6, 1
	v_add_co_u32_e32 v7, vcc, 8, v7
	v_mov_b32_e32 v11, s14
	s_addc_u32 s7, s7, 0
	v_addc_co_u32_e32 v8, vcc, 0, v8, vcc
	v_mov_b32_e32 v12, s15
	v_cmp_lt_i64_e32 vcc, s[6:7], v[11:12]
	v_mov_b32_e32 v0, s5
	v_add_co_u32_e64 v9, s[0:1], s4, v9
	v_addc_co_u32_e64 v10, s[0:1], v10, v0, s[0:1]
	s_cbranch_vccz .LBB6_5
.LBB6_3:                                ; =>This Inner Loop Header: Depth=1
	s_and_saveexec_b64 s[0:1], s[10:11]
	s_cbranch_execz .LBB6_2
; %bb.4:                                ;   in Loop: Header=BB6_3 Depth=1
	global_load_dwordx2 v[11:12], v[7:8], off
	global_load_dwordx2 v[13:14], v[9:10], off
	s_waitcnt vmcnt(0)
	v_fma_f64 v[3:4], v[11:12], v[13:14], v[3:4]
	s_branch .LBB6_2
.LBB6_5:
	s_and_saveexec_b64 s[0:1], s[10:11]
	s_cbranch_execz .LBB6_7
; %bb.6:
	v_mov_b32_e32 v0, s9
	v_add_co_u32_e32 v1, vcc, s8, v1
	v_addc_co_u32_e32 v0, vcc, v0, v2, vcc
	v_mul_lo_u32 v2, s21, v1
	v_mul_lo_u32 v7, s20, v0
	v_mad_u64_u32 v[0:1], s[0:1], s20, v1, 0
	v_lshlrev_b64 v[5:6], 3, v[5:6]
	s_lshl_b64 s[0:1], s[12:13], 3
	v_add3_u32 v1, v1, v7, v2
	v_mov_b32_e32 v2, s3
	v_add_co_u32_e32 v5, vcc, s2, v5
	v_addc_co_u32_e32 v2, vcc, v2, v6, vcc
	v_mov_b32_e32 v6, s1
	v_add_co_u32_e32 v5, vcc, s0, v5
	v_lshlrev_b64 v[0:1], 3, v[0:1]
	v_addc_co_u32_e32 v2, vcc, v2, v6, vcc
	v_add_co_u32_e32 v0, vcc, v5, v0
	v_addc_co_u32_e32 v1, vcc, v2, v1, vcc
	global_store_dwordx2 v[0:1], v[3:4], off
.LBB6_7:
	s_endpgm
	.section	.rodata,"a",@progbits
	.p2align	6, 0x0
	.amdhsa_kernel _ZN4RAJA8internal22HipKernelLauncherFixedILi256ENS0_8LoopDataIN4camp5tupleIJNS_4SpanINS_9Iterators16numeric_iteratorIllPlEElEESA_SA_EEENS4_IJdEEENS3_9resources2v13HipEJZN8rajaperf9polybench13POLYBENCH_3MM17runHipVariantImplILm256EEEvNSG_9VariantIDEEUlRdE_ZNSJ_ILm256EEEvSK_EUllllSL_E_ZNSJ_ILm256EEEvSK_EUlllSL_E_EEENS0_24HipStatementListExecutorISP_NS3_4listIJNS_9statement3ForILl0ENS_6policy3hip11hip_indexerINS_17iteration_mapping6DirectELNS_23kernel_sync_requirementE0EJNS_3hip11IndexGlobalILNS_9named_dimE1ELi8ELi0EEEEEEJNST_ILl1ENSW_ISY_LSZ_0EJNS11_ILS12_0ELi32ELi0EEEEEEJNSS_6LambdaILl0EJNSR_IJNS0_9LambdaArgINS0_18lambda_arg_param_tELl0EEEEEEEEENST_ILl2ENSU_10sequential8seq_execEJNS17_ILl1EJNSR_IJNS18_INS0_16lambda_arg_seg_tELl0EEENS18_IS1F_Ll1EEENS18_IS1F_Ll2EEEEEES1B_EEEEEENS17_ILl2EJNSR_IJS1G_S1H_EEES1B_EEEEEEEEEEEENS0_9LoopTypesINSR_IJvvvEEES1S_EEEEEEvT0_
		.amdhsa_group_segment_fixed_size 0
		.amdhsa_private_segment_fixed_size 0
		.amdhsa_kernarg_size 328
		.amdhsa_user_sgpr_count 6
		.amdhsa_user_sgpr_private_segment_buffer 1
		.amdhsa_user_sgpr_dispatch_ptr 0
		.amdhsa_user_sgpr_queue_ptr 0
		.amdhsa_user_sgpr_kernarg_segment_ptr 1
		.amdhsa_user_sgpr_dispatch_id 0
		.amdhsa_user_sgpr_flat_scratch_init 0
		.amdhsa_user_sgpr_private_segment_size 0
		.amdhsa_uses_dynamic_stack 0
		.amdhsa_system_sgpr_private_segment_wavefront_offset 0
		.amdhsa_system_sgpr_workgroup_id_x 1
		.amdhsa_system_sgpr_workgroup_id_y 1
		.amdhsa_system_sgpr_workgroup_id_z 0
		.amdhsa_system_sgpr_workgroup_info 0
		.amdhsa_system_vgpr_workitem_id 1
		.amdhsa_next_free_vgpr 15
		.amdhsa_next_free_sgpr 26
		.amdhsa_reserve_vcc 1
		.amdhsa_reserve_flat_scratch 0
		.amdhsa_float_round_mode_32 0
		.amdhsa_float_round_mode_16_64 0
		.amdhsa_float_denorm_mode_32 3
		.amdhsa_float_denorm_mode_16_64 3
		.amdhsa_dx10_clamp 1
		.amdhsa_ieee_mode 1
		.amdhsa_fp16_overflow 0
		.amdhsa_exception_fp_ieee_invalid_op 0
		.amdhsa_exception_fp_denorm_src 0
		.amdhsa_exception_fp_ieee_div_zero 0
		.amdhsa_exception_fp_ieee_overflow 0
		.amdhsa_exception_fp_ieee_underflow 0
		.amdhsa_exception_fp_ieee_inexact 0
		.amdhsa_exception_int_div_zero 0
	.end_amdhsa_kernel
	.section	.text._ZN4RAJA8internal22HipKernelLauncherFixedILi256ENS0_8LoopDataIN4camp5tupleIJNS_4SpanINS_9Iterators16numeric_iteratorIllPlEElEESA_SA_EEENS4_IJdEEENS3_9resources2v13HipEJZN8rajaperf9polybench13POLYBENCH_3MM17runHipVariantImplILm256EEEvNSG_9VariantIDEEUlRdE_ZNSJ_ILm256EEEvSK_EUllllSL_E_ZNSJ_ILm256EEEvSK_EUlllSL_E_EEENS0_24HipStatementListExecutorISP_NS3_4listIJNS_9statement3ForILl0ENS_6policy3hip11hip_indexerINS_17iteration_mapping6DirectELNS_23kernel_sync_requirementE0EJNS_3hip11IndexGlobalILNS_9named_dimE1ELi8ELi0EEEEEEJNST_ILl1ENSW_ISY_LSZ_0EJNS11_ILS12_0ELi32ELi0EEEEEEJNSS_6LambdaILl0EJNSR_IJNS0_9LambdaArgINS0_18lambda_arg_param_tELl0EEEEEEEEENST_ILl2ENSU_10sequential8seq_execEJNS17_ILl1EJNSR_IJNS18_INS0_16lambda_arg_seg_tELl0EEENS18_IS1F_Ll1EEENS18_IS1F_Ll2EEEEEES1B_EEEEEENS17_ILl2EJNSR_IJS1G_S1H_EEES1B_EEEEEEEEEEEENS0_9LoopTypesINSR_IJvvvEEES1S_EEEEEEvT0_,"axG",@progbits,_ZN4RAJA8internal22HipKernelLauncherFixedILi256ENS0_8LoopDataIN4camp5tupleIJNS_4SpanINS_9Iterators16numeric_iteratorIllPlEElEESA_SA_EEENS4_IJdEEENS3_9resources2v13HipEJZN8rajaperf9polybench13POLYBENCH_3MM17runHipVariantImplILm256EEEvNSG_9VariantIDEEUlRdE_ZNSJ_ILm256EEEvSK_EUllllSL_E_ZNSJ_ILm256EEEvSK_EUlllSL_E_EEENS0_24HipStatementListExecutorISP_NS3_4listIJNS_9statement3ForILl0ENS_6policy3hip11hip_indexerINS_17iteration_mapping6DirectELNS_23kernel_sync_requirementE0EJNS_3hip11IndexGlobalILNS_9named_dimE1ELi8ELi0EEEEEEJNST_ILl1ENSW_ISY_LSZ_0EJNS11_ILS12_0ELi32ELi0EEEEEEJNSS_6LambdaILl0EJNSR_IJNS0_9LambdaArgINS0_18lambda_arg_param_tELl0EEEEEEEEENST_ILl2ENSU_10sequential8seq_execEJNS17_ILl1EJNSR_IJNS18_INS0_16lambda_arg_seg_tELl0EEENS18_IS1F_Ll1EEENS18_IS1F_Ll2EEEEEES1B_EEEEEENS17_ILl2EJNSR_IJS1G_S1H_EEES1B_EEEEEEEEEEEENS0_9LoopTypesINSR_IJvvvEEES1S_EEEEEEvT0_,comdat
.Lfunc_end6:
	.size	_ZN4RAJA8internal22HipKernelLauncherFixedILi256ENS0_8LoopDataIN4camp5tupleIJNS_4SpanINS_9Iterators16numeric_iteratorIllPlEElEESA_SA_EEENS4_IJdEEENS3_9resources2v13HipEJZN8rajaperf9polybench13POLYBENCH_3MM17runHipVariantImplILm256EEEvNSG_9VariantIDEEUlRdE_ZNSJ_ILm256EEEvSK_EUllllSL_E_ZNSJ_ILm256EEEvSK_EUlllSL_E_EEENS0_24HipStatementListExecutorISP_NS3_4listIJNS_9statement3ForILl0ENS_6policy3hip11hip_indexerINS_17iteration_mapping6DirectELNS_23kernel_sync_requirementE0EJNS_3hip11IndexGlobalILNS_9named_dimE1ELi8ELi0EEEEEEJNST_ILl1ENSW_ISY_LSZ_0EJNS11_ILS12_0ELi32ELi0EEEEEEJNSS_6LambdaILl0EJNSR_IJNS0_9LambdaArgINS0_18lambda_arg_param_tELl0EEEEEEEEENST_ILl2ENSU_10sequential8seq_execEJNS17_ILl1EJNSR_IJNS18_INS0_16lambda_arg_seg_tELl0EEENS18_IS1F_Ll1EEENS18_IS1F_Ll2EEEEEES1B_EEEEEENS17_ILl2EJNSR_IJS1G_S1H_EEES1B_EEEEEEEEEEEENS0_9LoopTypesINSR_IJvvvEEES1S_EEEEEEvT0_, .Lfunc_end6-_ZN4RAJA8internal22HipKernelLauncherFixedILi256ENS0_8LoopDataIN4camp5tupleIJNS_4SpanINS_9Iterators16numeric_iteratorIllPlEElEESA_SA_EEENS4_IJdEEENS3_9resources2v13HipEJZN8rajaperf9polybench13POLYBENCH_3MM17runHipVariantImplILm256EEEvNSG_9VariantIDEEUlRdE_ZNSJ_ILm256EEEvSK_EUllllSL_E_ZNSJ_ILm256EEEvSK_EUlllSL_E_EEENS0_24HipStatementListExecutorISP_NS3_4listIJNS_9statement3ForILl0ENS_6policy3hip11hip_indexerINS_17iteration_mapping6DirectELNS_23kernel_sync_requirementE0EJNS_3hip11IndexGlobalILNS_9named_dimE1ELi8ELi0EEEEEEJNST_ILl1ENSW_ISY_LSZ_0EJNS11_ILS12_0ELi32ELi0EEEEEEJNSS_6LambdaILl0EJNSR_IJNS0_9LambdaArgINS0_18lambda_arg_param_tELl0EEEEEEEEENST_ILl2ENSU_10sequential8seq_execEJNS17_ILl1EJNSR_IJNS18_INS0_16lambda_arg_seg_tELl0EEENS18_IS1F_Ll1EEENS18_IS1F_Ll2EEEEEES1B_EEEEEENS17_ILl2EJNSR_IJS1G_S1H_EEES1B_EEEEEEEEEEEENS0_9LoopTypesINSR_IJvvvEEES1S_EEEEEEvT0_
                                        ; -- End function
	.set _ZN4RAJA8internal22HipKernelLauncherFixedILi256ENS0_8LoopDataIN4camp5tupleIJNS_4SpanINS_9Iterators16numeric_iteratorIllPlEElEESA_SA_EEENS4_IJdEEENS3_9resources2v13HipEJZN8rajaperf9polybench13POLYBENCH_3MM17runHipVariantImplILm256EEEvNSG_9VariantIDEEUlRdE_ZNSJ_ILm256EEEvSK_EUllllSL_E_ZNSJ_ILm256EEEvSK_EUlllSL_E_EEENS0_24HipStatementListExecutorISP_NS3_4listIJNS_9statement3ForILl0ENS_6policy3hip11hip_indexerINS_17iteration_mapping6DirectELNS_23kernel_sync_requirementE0EJNS_3hip11IndexGlobalILNS_9named_dimE1ELi8ELi0EEEEEEJNST_ILl1ENSW_ISY_LSZ_0EJNS11_ILS12_0ELi32ELi0EEEEEEJNSS_6LambdaILl0EJNSR_IJNS0_9LambdaArgINS0_18lambda_arg_param_tELl0EEEEEEEEENST_ILl2ENSU_10sequential8seq_execEJNS17_ILl1EJNSR_IJNS18_INS0_16lambda_arg_seg_tELl0EEENS18_IS1F_Ll1EEENS18_IS1F_Ll2EEEEEES1B_EEEEEENS17_ILl2EJNSR_IJS1G_S1H_EEES1B_EEEEEEEEEEEENS0_9LoopTypesINSR_IJvvvEEES1S_EEEEEEvT0_.num_vgpr, 15
	.set _ZN4RAJA8internal22HipKernelLauncherFixedILi256ENS0_8LoopDataIN4camp5tupleIJNS_4SpanINS_9Iterators16numeric_iteratorIllPlEElEESA_SA_EEENS4_IJdEEENS3_9resources2v13HipEJZN8rajaperf9polybench13POLYBENCH_3MM17runHipVariantImplILm256EEEvNSG_9VariantIDEEUlRdE_ZNSJ_ILm256EEEvSK_EUllllSL_E_ZNSJ_ILm256EEEvSK_EUlllSL_E_EEENS0_24HipStatementListExecutorISP_NS3_4listIJNS_9statement3ForILl0ENS_6policy3hip11hip_indexerINS_17iteration_mapping6DirectELNS_23kernel_sync_requirementE0EJNS_3hip11IndexGlobalILNS_9named_dimE1ELi8ELi0EEEEEEJNST_ILl1ENSW_ISY_LSZ_0EJNS11_ILS12_0ELi32ELi0EEEEEEJNSS_6LambdaILl0EJNSR_IJNS0_9LambdaArgINS0_18lambda_arg_param_tELl0EEEEEEEEENST_ILl2ENSU_10sequential8seq_execEJNS17_ILl1EJNSR_IJNS18_INS0_16lambda_arg_seg_tELl0EEENS18_IS1F_Ll1EEENS18_IS1F_Ll2EEEEEES1B_EEEEEENS17_ILl2EJNSR_IJS1G_S1H_EEES1B_EEEEEEEEEEEENS0_9LoopTypesINSR_IJvvvEEES1S_EEEEEEvT0_.num_agpr, 0
	.set _ZN4RAJA8internal22HipKernelLauncherFixedILi256ENS0_8LoopDataIN4camp5tupleIJNS_4SpanINS_9Iterators16numeric_iteratorIllPlEElEESA_SA_EEENS4_IJdEEENS3_9resources2v13HipEJZN8rajaperf9polybench13POLYBENCH_3MM17runHipVariantImplILm256EEEvNSG_9VariantIDEEUlRdE_ZNSJ_ILm256EEEvSK_EUllllSL_E_ZNSJ_ILm256EEEvSK_EUlllSL_E_EEENS0_24HipStatementListExecutorISP_NS3_4listIJNS_9statement3ForILl0ENS_6policy3hip11hip_indexerINS_17iteration_mapping6DirectELNS_23kernel_sync_requirementE0EJNS_3hip11IndexGlobalILNS_9named_dimE1ELi8ELi0EEEEEEJNST_ILl1ENSW_ISY_LSZ_0EJNS11_ILS12_0ELi32ELi0EEEEEEJNSS_6LambdaILl0EJNSR_IJNS0_9LambdaArgINS0_18lambda_arg_param_tELl0EEEEEEEEENST_ILl2ENSU_10sequential8seq_execEJNS17_ILl1EJNSR_IJNS18_INS0_16lambda_arg_seg_tELl0EEENS18_IS1F_Ll1EEENS18_IS1F_Ll2EEEEEES1B_EEEEEENS17_ILl2EJNSR_IJS1G_S1H_EEES1B_EEEEEEEEEEEENS0_9LoopTypesINSR_IJvvvEEES1S_EEEEEEvT0_.numbered_sgpr, 26
	.set _ZN4RAJA8internal22HipKernelLauncherFixedILi256ENS0_8LoopDataIN4camp5tupleIJNS_4SpanINS_9Iterators16numeric_iteratorIllPlEElEESA_SA_EEENS4_IJdEEENS3_9resources2v13HipEJZN8rajaperf9polybench13POLYBENCH_3MM17runHipVariantImplILm256EEEvNSG_9VariantIDEEUlRdE_ZNSJ_ILm256EEEvSK_EUllllSL_E_ZNSJ_ILm256EEEvSK_EUlllSL_E_EEENS0_24HipStatementListExecutorISP_NS3_4listIJNS_9statement3ForILl0ENS_6policy3hip11hip_indexerINS_17iteration_mapping6DirectELNS_23kernel_sync_requirementE0EJNS_3hip11IndexGlobalILNS_9named_dimE1ELi8ELi0EEEEEEJNST_ILl1ENSW_ISY_LSZ_0EJNS11_ILS12_0ELi32ELi0EEEEEEJNSS_6LambdaILl0EJNSR_IJNS0_9LambdaArgINS0_18lambda_arg_param_tELl0EEEEEEEEENST_ILl2ENSU_10sequential8seq_execEJNS17_ILl1EJNSR_IJNS18_INS0_16lambda_arg_seg_tELl0EEENS18_IS1F_Ll1EEENS18_IS1F_Ll2EEEEEES1B_EEEEEENS17_ILl2EJNSR_IJS1G_S1H_EEES1B_EEEEEEEEEEEENS0_9LoopTypesINSR_IJvvvEEES1S_EEEEEEvT0_.num_named_barrier, 0
	.set _ZN4RAJA8internal22HipKernelLauncherFixedILi256ENS0_8LoopDataIN4camp5tupleIJNS_4SpanINS_9Iterators16numeric_iteratorIllPlEElEESA_SA_EEENS4_IJdEEENS3_9resources2v13HipEJZN8rajaperf9polybench13POLYBENCH_3MM17runHipVariantImplILm256EEEvNSG_9VariantIDEEUlRdE_ZNSJ_ILm256EEEvSK_EUllllSL_E_ZNSJ_ILm256EEEvSK_EUlllSL_E_EEENS0_24HipStatementListExecutorISP_NS3_4listIJNS_9statement3ForILl0ENS_6policy3hip11hip_indexerINS_17iteration_mapping6DirectELNS_23kernel_sync_requirementE0EJNS_3hip11IndexGlobalILNS_9named_dimE1ELi8ELi0EEEEEEJNST_ILl1ENSW_ISY_LSZ_0EJNS11_ILS12_0ELi32ELi0EEEEEEJNSS_6LambdaILl0EJNSR_IJNS0_9LambdaArgINS0_18lambda_arg_param_tELl0EEEEEEEEENST_ILl2ENSU_10sequential8seq_execEJNS17_ILl1EJNSR_IJNS18_INS0_16lambda_arg_seg_tELl0EEENS18_IS1F_Ll1EEENS18_IS1F_Ll2EEEEEES1B_EEEEEENS17_ILl2EJNSR_IJS1G_S1H_EEES1B_EEEEEEEEEEEENS0_9LoopTypesINSR_IJvvvEEES1S_EEEEEEvT0_.private_seg_size, 0
	.set _ZN4RAJA8internal22HipKernelLauncherFixedILi256ENS0_8LoopDataIN4camp5tupleIJNS_4SpanINS_9Iterators16numeric_iteratorIllPlEElEESA_SA_EEENS4_IJdEEENS3_9resources2v13HipEJZN8rajaperf9polybench13POLYBENCH_3MM17runHipVariantImplILm256EEEvNSG_9VariantIDEEUlRdE_ZNSJ_ILm256EEEvSK_EUllllSL_E_ZNSJ_ILm256EEEvSK_EUlllSL_E_EEENS0_24HipStatementListExecutorISP_NS3_4listIJNS_9statement3ForILl0ENS_6policy3hip11hip_indexerINS_17iteration_mapping6DirectELNS_23kernel_sync_requirementE0EJNS_3hip11IndexGlobalILNS_9named_dimE1ELi8ELi0EEEEEEJNST_ILl1ENSW_ISY_LSZ_0EJNS11_ILS12_0ELi32ELi0EEEEEEJNSS_6LambdaILl0EJNSR_IJNS0_9LambdaArgINS0_18lambda_arg_param_tELl0EEEEEEEEENST_ILl2ENSU_10sequential8seq_execEJNS17_ILl1EJNSR_IJNS18_INS0_16lambda_arg_seg_tELl0EEENS18_IS1F_Ll1EEENS18_IS1F_Ll2EEEEEES1B_EEEEEENS17_ILl2EJNSR_IJS1G_S1H_EEES1B_EEEEEEEEEEEENS0_9LoopTypesINSR_IJvvvEEES1S_EEEEEEvT0_.uses_vcc, 1
	.set _ZN4RAJA8internal22HipKernelLauncherFixedILi256ENS0_8LoopDataIN4camp5tupleIJNS_4SpanINS_9Iterators16numeric_iteratorIllPlEElEESA_SA_EEENS4_IJdEEENS3_9resources2v13HipEJZN8rajaperf9polybench13POLYBENCH_3MM17runHipVariantImplILm256EEEvNSG_9VariantIDEEUlRdE_ZNSJ_ILm256EEEvSK_EUllllSL_E_ZNSJ_ILm256EEEvSK_EUlllSL_E_EEENS0_24HipStatementListExecutorISP_NS3_4listIJNS_9statement3ForILl0ENS_6policy3hip11hip_indexerINS_17iteration_mapping6DirectELNS_23kernel_sync_requirementE0EJNS_3hip11IndexGlobalILNS_9named_dimE1ELi8ELi0EEEEEEJNST_ILl1ENSW_ISY_LSZ_0EJNS11_ILS12_0ELi32ELi0EEEEEEJNSS_6LambdaILl0EJNSR_IJNS0_9LambdaArgINS0_18lambda_arg_param_tELl0EEEEEEEEENST_ILl2ENSU_10sequential8seq_execEJNS17_ILl1EJNSR_IJNS18_INS0_16lambda_arg_seg_tELl0EEENS18_IS1F_Ll1EEENS18_IS1F_Ll2EEEEEES1B_EEEEEENS17_ILl2EJNSR_IJS1G_S1H_EEES1B_EEEEEEEEEEEENS0_9LoopTypesINSR_IJvvvEEES1S_EEEEEEvT0_.uses_flat_scratch, 0
	.set _ZN4RAJA8internal22HipKernelLauncherFixedILi256ENS0_8LoopDataIN4camp5tupleIJNS_4SpanINS_9Iterators16numeric_iteratorIllPlEElEESA_SA_EEENS4_IJdEEENS3_9resources2v13HipEJZN8rajaperf9polybench13POLYBENCH_3MM17runHipVariantImplILm256EEEvNSG_9VariantIDEEUlRdE_ZNSJ_ILm256EEEvSK_EUllllSL_E_ZNSJ_ILm256EEEvSK_EUlllSL_E_EEENS0_24HipStatementListExecutorISP_NS3_4listIJNS_9statement3ForILl0ENS_6policy3hip11hip_indexerINS_17iteration_mapping6DirectELNS_23kernel_sync_requirementE0EJNS_3hip11IndexGlobalILNS_9named_dimE1ELi8ELi0EEEEEEJNST_ILl1ENSW_ISY_LSZ_0EJNS11_ILS12_0ELi32ELi0EEEEEEJNSS_6LambdaILl0EJNSR_IJNS0_9LambdaArgINS0_18lambda_arg_param_tELl0EEEEEEEEENST_ILl2ENSU_10sequential8seq_execEJNS17_ILl1EJNSR_IJNS18_INS0_16lambda_arg_seg_tELl0EEENS18_IS1F_Ll1EEENS18_IS1F_Ll2EEEEEES1B_EEEEEENS17_ILl2EJNSR_IJS1G_S1H_EEES1B_EEEEEEEEEEEENS0_9LoopTypesINSR_IJvvvEEES1S_EEEEEEvT0_.has_dyn_sized_stack, 0
	.set _ZN4RAJA8internal22HipKernelLauncherFixedILi256ENS0_8LoopDataIN4camp5tupleIJNS_4SpanINS_9Iterators16numeric_iteratorIllPlEElEESA_SA_EEENS4_IJdEEENS3_9resources2v13HipEJZN8rajaperf9polybench13POLYBENCH_3MM17runHipVariantImplILm256EEEvNSG_9VariantIDEEUlRdE_ZNSJ_ILm256EEEvSK_EUllllSL_E_ZNSJ_ILm256EEEvSK_EUlllSL_E_EEENS0_24HipStatementListExecutorISP_NS3_4listIJNS_9statement3ForILl0ENS_6policy3hip11hip_indexerINS_17iteration_mapping6DirectELNS_23kernel_sync_requirementE0EJNS_3hip11IndexGlobalILNS_9named_dimE1ELi8ELi0EEEEEEJNST_ILl1ENSW_ISY_LSZ_0EJNS11_ILS12_0ELi32ELi0EEEEEEJNSS_6LambdaILl0EJNSR_IJNS0_9LambdaArgINS0_18lambda_arg_param_tELl0EEEEEEEEENST_ILl2ENSU_10sequential8seq_execEJNS17_ILl1EJNSR_IJNS18_INS0_16lambda_arg_seg_tELl0EEENS18_IS1F_Ll1EEENS18_IS1F_Ll2EEEEEES1B_EEEEEENS17_ILl2EJNSR_IJS1G_S1H_EEES1B_EEEEEEEEEEEENS0_9LoopTypesINSR_IJvvvEEES1S_EEEEEEvT0_.has_recursion, 0
	.set _ZN4RAJA8internal22HipKernelLauncherFixedILi256ENS0_8LoopDataIN4camp5tupleIJNS_4SpanINS_9Iterators16numeric_iteratorIllPlEElEESA_SA_EEENS4_IJdEEENS3_9resources2v13HipEJZN8rajaperf9polybench13POLYBENCH_3MM17runHipVariantImplILm256EEEvNSG_9VariantIDEEUlRdE_ZNSJ_ILm256EEEvSK_EUllllSL_E_ZNSJ_ILm256EEEvSK_EUlllSL_E_EEENS0_24HipStatementListExecutorISP_NS3_4listIJNS_9statement3ForILl0ENS_6policy3hip11hip_indexerINS_17iteration_mapping6DirectELNS_23kernel_sync_requirementE0EJNS_3hip11IndexGlobalILNS_9named_dimE1ELi8ELi0EEEEEEJNST_ILl1ENSW_ISY_LSZ_0EJNS11_ILS12_0ELi32ELi0EEEEEEJNSS_6LambdaILl0EJNSR_IJNS0_9LambdaArgINS0_18lambda_arg_param_tELl0EEEEEEEEENST_ILl2ENSU_10sequential8seq_execEJNS17_ILl1EJNSR_IJNS18_INS0_16lambda_arg_seg_tELl0EEENS18_IS1F_Ll1EEENS18_IS1F_Ll2EEEEEES1B_EEEEEENS17_ILl2EJNSR_IJS1G_S1H_EEES1B_EEEEEEEEEEEENS0_9LoopTypesINSR_IJvvvEEES1S_EEEEEEvT0_.has_indirect_call, 0
	.section	.AMDGPU.csdata,"",@progbits
; Kernel info:
; codeLenInByte = 592
; TotalNumSgprs: 30
; NumVgprs: 15
; ScratchSize: 0
; MemoryBound: 1
; FloatMode: 240
; IeeeMode: 1
; LDSByteSize: 0 bytes/workgroup (compile time only)
; SGPRBlocks: 3
; VGPRBlocks: 3
; NumSGPRsForWavesPerEU: 30
; NumVGPRsForWavesPerEU: 15
; Occupancy: 10
; WaveLimiterHint : 0
; COMPUTE_PGM_RSRC2:SCRATCH_EN: 0
; COMPUTE_PGM_RSRC2:USER_SGPR: 6
; COMPUTE_PGM_RSRC2:TRAP_HANDLER: 0
; COMPUTE_PGM_RSRC2:TGID_X_EN: 1
; COMPUTE_PGM_RSRC2:TGID_Y_EN: 1
; COMPUTE_PGM_RSRC2:TGID_Z_EN: 0
; COMPUTE_PGM_RSRC2:TIDIG_COMP_CNT: 1
	.section	.text._ZN4RAJA8internal22HipKernelLauncherFixedILi256ENS0_8LoopDataIN4camp5tupleIJNS_4SpanINS_9Iterators16numeric_iteratorIllPlEElEESA_SA_EEENS4_IJdEEENS3_9resources2v13HipEJZN8rajaperf9polybench13POLYBENCH_3MM17runHipVariantImplILm256EEEvNSG_9VariantIDEEUlRdE0_ZNSJ_ILm256EEEvSK_EUllllSL_E0_ZNSJ_ILm256EEEvSK_EUlllSL_E0_EEENS0_24HipStatementListExecutorISP_NS3_4listIJNS_9statement3ForILl0ENS_6policy3hip11hip_indexerINS_17iteration_mapping6DirectELNS_23kernel_sync_requirementE0EJNS_3hip11IndexGlobalILNS_9named_dimE1ELi8ELi0EEEEEEJNST_ILl1ENSW_ISY_LSZ_0EJNS11_ILS12_0ELi32ELi0EEEEEEJNSS_6LambdaILl0EJNSR_IJNS0_9LambdaArgINS0_18lambda_arg_param_tELl0EEEEEEEEENST_ILl2ENSU_10sequential8seq_execEJNS17_ILl1EJNSR_IJNS18_INS0_16lambda_arg_seg_tELl0EEENS18_IS1F_Ll1EEENS18_IS1F_Ll2EEEEEES1B_EEEEEENS17_ILl2EJNSR_IJS1G_S1H_EEES1B_EEEEEEEEEEEENS0_9LoopTypesINSR_IJvvvEEES1S_EEEEEEvT0_,"axG",@progbits,_ZN4RAJA8internal22HipKernelLauncherFixedILi256ENS0_8LoopDataIN4camp5tupleIJNS_4SpanINS_9Iterators16numeric_iteratorIllPlEElEESA_SA_EEENS4_IJdEEENS3_9resources2v13HipEJZN8rajaperf9polybench13POLYBENCH_3MM17runHipVariantImplILm256EEEvNSG_9VariantIDEEUlRdE0_ZNSJ_ILm256EEEvSK_EUllllSL_E0_ZNSJ_ILm256EEEvSK_EUlllSL_E0_EEENS0_24HipStatementListExecutorISP_NS3_4listIJNS_9statement3ForILl0ENS_6policy3hip11hip_indexerINS_17iteration_mapping6DirectELNS_23kernel_sync_requirementE0EJNS_3hip11IndexGlobalILNS_9named_dimE1ELi8ELi0EEEEEEJNST_ILl1ENSW_ISY_LSZ_0EJNS11_ILS12_0ELi32ELi0EEEEEEJNSS_6LambdaILl0EJNSR_IJNS0_9LambdaArgINS0_18lambda_arg_param_tELl0EEEEEEEEENST_ILl2ENSU_10sequential8seq_execEJNS17_ILl1EJNSR_IJNS18_INS0_16lambda_arg_seg_tELl0EEENS18_IS1F_Ll1EEENS18_IS1F_Ll2EEEEEES1B_EEEEEENS17_ILl2EJNSR_IJS1G_S1H_EEES1B_EEEEEEEEEEEENS0_9LoopTypesINSR_IJvvvEEES1S_EEEEEEvT0_,comdat
	.protected	_ZN4RAJA8internal22HipKernelLauncherFixedILi256ENS0_8LoopDataIN4camp5tupleIJNS_4SpanINS_9Iterators16numeric_iteratorIllPlEElEESA_SA_EEENS4_IJdEEENS3_9resources2v13HipEJZN8rajaperf9polybench13POLYBENCH_3MM17runHipVariantImplILm256EEEvNSG_9VariantIDEEUlRdE0_ZNSJ_ILm256EEEvSK_EUllllSL_E0_ZNSJ_ILm256EEEvSK_EUlllSL_E0_EEENS0_24HipStatementListExecutorISP_NS3_4listIJNS_9statement3ForILl0ENS_6policy3hip11hip_indexerINS_17iteration_mapping6DirectELNS_23kernel_sync_requirementE0EJNS_3hip11IndexGlobalILNS_9named_dimE1ELi8ELi0EEEEEEJNST_ILl1ENSW_ISY_LSZ_0EJNS11_ILS12_0ELi32ELi0EEEEEEJNSS_6LambdaILl0EJNSR_IJNS0_9LambdaArgINS0_18lambda_arg_param_tELl0EEEEEEEEENST_ILl2ENSU_10sequential8seq_execEJNS17_ILl1EJNSR_IJNS18_INS0_16lambda_arg_seg_tELl0EEENS18_IS1F_Ll1EEENS18_IS1F_Ll2EEEEEES1B_EEEEEENS17_ILl2EJNSR_IJS1G_S1H_EEES1B_EEEEEEEEEEEENS0_9LoopTypesINSR_IJvvvEEES1S_EEEEEEvT0_ ; -- Begin function _ZN4RAJA8internal22HipKernelLauncherFixedILi256ENS0_8LoopDataIN4camp5tupleIJNS_4SpanINS_9Iterators16numeric_iteratorIllPlEElEESA_SA_EEENS4_IJdEEENS3_9resources2v13HipEJZN8rajaperf9polybench13POLYBENCH_3MM17runHipVariantImplILm256EEEvNSG_9VariantIDEEUlRdE0_ZNSJ_ILm256EEEvSK_EUllllSL_E0_ZNSJ_ILm256EEEvSK_EUlllSL_E0_EEENS0_24HipStatementListExecutorISP_NS3_4listIJNS_9statement3ForILl0ENS_6policy3hip11hip_indexerINS_17iteration_mapping6DirectELNS_23kernel_sync_requirementE0EJNS_3hip11IndexGlobalILNS_9named_dimE1ELi8ELi0EEEEEEJNST_ILl1ENSW_ISY_LSZ_0EJNS11_ILS12_0ELi32ELi0EEEEEEJNSS_6LambdaILl0EJNSR_IJNS0_9LambdaArgINS0_18lambda_arg_param_tELl0EEEEEEEEENST_ILl2ENSU_10sequential8seq_execEJNS17_ILl1EJNSR_IJNS18_INS0_16lambda_arg_seg_tELl0EEENS18_IS1F_Ll1EEENS18_IS1F_Ll2EEEEEES1B_EEEEEENS17_ILl2EJNSR_IJS1G_S1H_EEES1B_EEEEEEEEEEEENS0_9LoopTypesINSR_IJvvvEEES1S_EEEEEEvT0_
	.globl	_ZN4RAJA8internal22HipKernelLauncherFixedILi256ENS0_8LoopDataIN4camp5tupleIJNS_4SpanINS_9Iterators16numeric_iteratorIllPlEElEESA_SA_EEENS4_IJdEEENS3_9resources2v13HipEJZN8rajaperf9polybench13POLYBENCH_3MM17runHipVariantImplILm256EEEvNSG_9VariantIDEEUlRdE0_ZNSJ_ILm256EEEvSK_EUllllSL_E0_ZNSJ_ILm256EEEvSK_EUlllSL_E0_EEENS0_24HipStatementListExecutorISP_NS3_4listIJNS_9statement3ForILl0ENS_6policy3hip11hip_indexerINS_17iteration_mapping6DirectELNS_23kernel_sync_requirementE0EJNS_3hip11IndexGlobalILNS_9named_dimE1ELi8ELi0EEEEEEJNST_ILl1ENSW_ISY_LSZ_0EJNS11_ILS12_0ELi32ELi0EEEEEEJNSS_6LambdaILl0EJNSR_IJNS0_9LambdaArgINS0_18lambda_arg_param_tELl0EEEEEEEEENST_ILl2ENSU_10sequential8seq_execEJNS17_ILl1EJNSR_IJNS18_INS0_16lambda_arg_seg_tELl0EEENS18_IS1F_Ll1EEENS18_IS1F_Ll2EEEEEES1B_EEEEEENS17_ILl2EJNSR_IJS1G_S1H_EEES1B_EEEEEEEEEEEENS0_9LoopTypesINSR_IJvvvEEES1S_EEEEEEvT0_
	.p2align	8
	.type	_ZN4RAJA8internal22HipKernelLauncherFixedILi256ENS0_8LoopDataIN4camp5tupleIJNS_4SpanINS_9Iterators16numeric_iteratorIllPlEElEESA_SA_EEENS4_IJdEEENS3_9resources2v13HipEJZN8rajaperf9polybench13POLYBENCH_3MM17runHipVariantImplILm256EEEvNSG_9VariantIDEEUlRdE0_ZNSJ_ILm256EEEvSK_EUllllSL_E0_ZNSJ_ILm256EEEvSK_EUlllSL_E0_EEENS0_24HipStatementListExecutorISP_NS3_4listIJNS_9statement3ForILl0ENS_6policy3hip11hip_indexerINS_17iteration_mapping6DirectELNS_23kernel_sync_requirementE0EJNS_3hip11IndexGlobalILNS_9named_dimE1ELi8ELi0EEEEEEJNST_ILl1ENSW_ISY_LSZ_0EJNS11_ILS12_0ELi32ELi0EEEEEEJNSS_6LambdaILl0EJNSR_IJNS0_9LambdaArgINS0_18lambda_arg_param_tELl0EEEEEEEEENST_ILl2ENSU_10sequential8seq_execEJNS17_ILl1EJNSR_IJNS18_INS0_16lambda_arg_seg_tELl0EEENS18_IS1F_Ll1EEENS18_IS1F_Ll2EEEEEES1B_EEEEEENS17_ILl2EJNSR_IJS1G_S1H_EEES1B_EEEEEEEEEEEENS0_9LoopTypesINSR_IJvvvEEES1S_EEEEEEvT0_,@function
_ZN4RAJA8internal22HipKernelLauncherFixedILi256ENS0_8LoopDataIN4camp5tupleIJNS_4SpanINS_9Iterators16numeric_iteratorIllPlEElEESA_SA_EEENS4_IJdEEENS3_9resources2v13HipEJZN8rajaperf9polybench13POLYBENCH_3MM17runHipVariantImplILm256EEEvNSG_9VariantIDEEUlRdE0_ZNSJ_ILm256EEEvSK_EUllllSL_E0_ZNSJ_ILm256EEEvSK_EUlllSL_E0_EEENS0_24HipStatementListExecutorISP_NS3_4listIJNS_9statement3ForILl0ENS_6policy3hip11hip_indexerINS_17iteration_mapping6DirectELNS_23kernel_sync_requirementE0EJNS_3hip11IndexGlobalILNS_9named_dimE1ELi8ELi0EEEEEEJNST_ILl1ENSW_ISY_LSZ_0EJNS11_ILS12_0ELi32ELi0EEEEEEJNSS_6LambdaILl0EJNSR_IJNS0_9LambdaArgINS0_18lambda_arg_param_tELl0EEEEEEEEENST_ILl2ENSU_10sequential8seq_execEJNS17_ILl1EJNSR_IJNS18_INS0_16lambda_arg_seg_tELl0EEENS18_IS1F_Ll1EEENS18_IS1F_Ll2EEEEEES1B_EEEEEENS17_ILl2EJNSR_IJS1G_S1H_EEES1B_EEEEEEEEEEEENS0_9LoopTypesINSR_IJvvvEEES1S_EEEEEEvT0_: ; @_ZN4RAJA8internal22HipKernelLauncherFixedILi256ENS0_8LoopDataIN4camp5tupleIJNS_4SpanINS_9Iterators16numeric_iteratorIllPlEElEESA_SA_EEENS4_IJdEEENS3_9resources2v13HipEJZN8rajaperf9polybench13POLYBENCH_3MM17runHipVariantImplILm256EEEvNSG_9VariantIDEEUlRdE0_ZNSJ_ILm256EEEvSK_EUllllSL_E0_ZNSJ_ILm256EEEvSK_EUlllSL_E0_EEENS0_24HipStatementListExecutorISP_NS3_4listIJNS_9statement3ForILl0ENS_6policy3hip11hip_indexerINS_17iteration_mapping6DirectELNS_23kernel_sync_requirementE0EJNS_3hip11IndexGlobalILNS_9named_dimE1ELi8ELi0EEEEEEJNST_ILl1ENSW_ISY_LSZ_0EJNS11_ILS12_0ELi32ELi0EEEEEEJNSS_6LambdaILl0EJNSR_IJNS0_9LambdaArgINS0_18lambda_arg_param_tELl0EEEEEEEEENST_ILl2ENSU_10sequential8seq_execEJNS17_ILl1EJNSR_IJNS18_INS0_16lambda_arg_seg_tELl0EEENS18_IS1F_Ll1EEENS18_IS1F_Ll2EEEEEES1B_EEEEEENS17_ILl2EJNSR_IJS1G_S1H_EEES1B_EEEEEEEEEEEENS0_9LoopTypesINSR_IJvvvEEES1S_EEEEEEvT0_
; %bb.0:
	s_load_dwordx8 s[8:15], s[4:5], 0x0
	s_load_dwordx4 s[16:19], s[4:5], 0x20
	s_load_dwordx2 s[22:23], s[4:5], 0x30
	s_load_dwordx2 s[2:3], s[4:5], 0xd8
	;; [unrolled: 1-line block ×3, first 2 shown]
	s_mov_b32 s0, s7
	s_waitcnt lgkmcnt(0)
	s_sub_u32 s10, s10, s8
	s_mov_b32 s1, 0
	s_subb_u32 s11, s11, s9
	s_lshl_b64 s[24:25], s[0:1], 3
	v_mov_b32_e32 v2, s25
	v_add_co_u32_e32 v1, vcc, s24, v1
	v_addc_co_u32_e32 v2, vcc, 0, v2, vcc
	v_cmp_gt_i64_e32 vcc, s[10:11], v[1:2]
	s_sub_u32 s10, s14, s12
	s_mov_b32 s7, s1
	s_subb_u32 s11, s15, s13
	s_lshl_b64 s[0:1], s[6:7], 5
	v_mov_b32_e32 v3, s1
	v_add_co_u32_e64 v5, s[0:1], s0, v0
	v_addc_co_u32_e64 v6, s[0:1], 0, v3, s[0:1]
	v_cmp_gt_i64_e64 s[0:1], s[10:11], v[5:6]
	v_mov_b32_e32 v3, s23
	s_and_b64 s[10:11], vcc, s[0:1]
	s_sub_u32 s14, s18, s16
	s_subb_u32 s15, s19, s17
	v_cmp_lt_i64_e64 s[0:1], s[14:15], 1
	v_cndmask_b32_e64 v4, v3, 0, s[10:11]
	v_mov_b32_e32 v3, s22
	v_cndmask_b32_e64 v3, v3, 0, s[10:11]
	s_and_b64 vcc, exec, s[0:1]
	s_cbranch_vccnz .LBB7_5
; %bb.1:
	s_load_dwordx2 s[0:1], s[4:5], 0x60
	v_mov_b32_e32 v7, s9
	v_add_co_u32_e32 v8, vcc, s8, v1
	v_addc_co_u32_e32 v7, vcc, v7, v2, vcc
	s_waitcnt lgkmcnt(0)
	v_mul_lo_u32 v9, s1, v8
	v_mul_lo_u32 v10, s0, v7
	v_mad_u64_u32 v[7:8], s[0:1], s0, v8, 0
	s_load_dwordx2 s[0:1], s[4:5], 0x48
	s_load_dwordx2 s[18:19], s[4:5], 0xa8
	;; [unrolled: 1-line block ×3, first 2 shown]
	s_lshl_b64 s[4:5], s[16:17], 3
	v_add3_u32 v8, v8, v10, v9
	v_lshlrev_b64 v[7:8], 3, v[7:8]
	s_waitcnt lgkmcnt(0)
	s_add_u32 s0, s0, s4
	s_addc_u32 s1, s1, s5
	v_mov_b32_e32 v9, s1
	v_add_co_u32_e32 v7, vcc, s0, v7
	s_mul_i32 s0, s16, s19
	s_mul_hi_u32 s1, s16, s18
	s_add_i32 s0, s1, s0
	s_mul_i32 s1, s17, s18
	s_add_i32 s1, s0, s1
	s_mul_i32 s0, s16, s18
	s_lshl_b64 s[0:1], s[0:1], 3
	s_lshl_b64 s[4:5], s[6:7], 8
	s_add_u32 s4, s0, s4
	s_addc_u32 s5, s1, s5
	s_lshl_b64 s[0:1], s[12:13], 3
	s_add_u32 s0, s4, s0
	s_addc_u32 s1, s5, s1
	s_add_u32 s0, s22, s0
	v_addc_co_u32_e32 v8, vcc, v9, v8, vcc
	v_lshlrev_b32_e32 v0, 3, v0
	s_addc_u32 s1, s23, s1
	v_mov_b32_e32 v10, s1
	v_add_co_u32_e32 v9, vcc, s0, v0
	v_addc_co_u32_e32 v10, vcc, 0, v10, vcc
	s_lshl_b64 s[4:5], s[18:19], 3
	s_mov_b64 s[6:7], 0
	s_branch .LBB7_3
.LBB7_2:                                ;   in Loop: Header=BB7_3 Depth=1
	s_or_b64 exec, exec, s[0:1]
	s_add_u32 s6, s6, 1
	v_add_co_u32_e32 v7, vcc, 8, v7
	v_mov_b32_e32 v11, s14
	s_addc_u32 s7, s7, 0
	v_addc_co_u32_e32 v8, vcc, 0, v8, vcc
	v_mov_b32_e32 v12, s15
	v_cmp_lt_i64_e32 vcc, s[6:7], v[11:12]
	v_mov_b32_e32 v0, s5
	v_add_co_u32_e64 v9, s[0:1], s4, v9
	v_addc_co_u32_e64 v10, s[0:1], v10, v0, s[0:1]
	s_cbranch_vccz .LBB7_5
.LBB7_3:                                ; =>This Inner Loop Header: Depth=1
	s_and_saveexec_b64 s[0:1], s[10:11]
	s_cbranch_execz .LBB7_2
; %bb.4:                                ;   in Loop: Header=BB7_3 Depth=1
	global_load_dwordx2 v[11:12], v[7:8], off
	global_load_dwordx2 v[13:14], v[9:10], off
	s_waitcnt vmcnt(0)
	v_fma_f64 v[3:4], v[11:12], v[13:14], v[3:4]
	s_branch .LBB7_2
.LBB7_5:
	s_and_saveexec_b64 s[0:1], s[10:11]
	s_cbranch_execz .LBB7_7
; %bb.6:
	v_mov_b32_e32 v0, s9
	v_add_co_u32_e32 v1, vcc, s8, v1
	v_addc_co_u32_e32 v0, vcc, v0, v2, vcc
	v_mul_lo_u32 v2, s21, v1
	v_mul_lo_u32 v7, s20, v0
	v_mad_u64_u32 v[0:1], s[0:1], s20, v1, 0
	v_lshlrev_b64 v[5:6], 3, v[5:6]
	s_lshl_b64 s[0:1], s[12:13], 3
	v_add3_u32 v1, v1, v7, v2
	v_mov_b32_e32 v2, s3
	v_add_co_u32_e32 v5, vcc, s2, v5
	v_addc_co_u32_e32 v2, vcc, v2, v6, vcc
	v_mov_b32_e32 v6, s1
	v_add_co_u32_e32 v5, vcc, s0, v5
	v_lshlrev_b64 v[0:1], 3, v[0:1]
	v_addc_co_u32_e32 v2, vcc, v2, v6, vcc
	v_add_co_u32_e32 v0, vcc, v5, v0
	v_addc_co_u32_e32 v1, vcc, v2, v1, vcc
	global_store_dwordx2 v[0:1], v[3:4], off
.LBB7_7:
	s_endpgm
	.section	.rodata,"a",@progbits
	.p2align	6, 0x0
	.amdhsa_kernel _ZN4RAJA8internal22HipKernelLauncherFixedILi256ENS0_8LoopDataIN4camp5tupleIJNS_4SpanINS_9Iterators16numeric_iteratorIllPlEElEESA_SA_EEENS4_IJdEEENS3_9resources2v13HipEJZN8rajaperf9polybench13POLYBENCH_3MM17runHipVariantImplILm256EEEvNSG_9VariantIDEEUlRdE0_ZNSJ_ILm256EEEvSK_EUllllSL_E0_ZNSJ_ILm256EEEvSK_EUlllSL_E0_EEENS0_24HipStatementListExecutorISP_NS3_4listIJNS_9statement3ForILl0ENS_6policy3hip11hip_indexerINS_17iteration_mapping6DirectELNS_23kernel_sync_requirementE0EJNS_3hip11IndexGlobalILNS_9named_dimE1ELi8ELi0EEEEEEJNST_ILl1ENSW_ISY_LSZ_0EJNS11_ILS12_0ELi32ELi0EEEEEEJNSS_6LambdaILl0EJNSR_IJNS0_9LambdaArgINS0_18lambda_arg_param_tELl0EEEEEEEEENST_ILl2ENSU_10sequential8seq_execEJNS17_ILl1EJNSR_IJNS18_INS0_16lambda_arg_seg_tELl0EEENS18_IS1F_Ll1EEENS18_IS1F_Ll2EEEEEES1B_EEEEEENS17_ILl2EJNSR_IJS1G_S1H_EEES1B_EEEEEEEEEEEENS0_9LoopTypesINSR_IJvvvEEES1S_EEEEEEvT0_
		.amdhsa_group_segment_fixed_size 0
		.amdhsa_private_segment_fixed_size 0
		.amdhsa_kernarg_size 328
		.amdhsa_user_sgpr_count 6
		.amdhsa_user_sgpr_private_segment_buffer 1
		.amdhsa_user_sgpr_dispatch_ptr 0
		.amdhsa_user_sgpr_queue_ptr 0
		.amdhsa_user_sgpr_kernarg_segment_ptr 1
		.amdhsa_user_sgpr_dispatch_id 0
		.amdhsa_user_sgpr_flat_scratch_init 0
		.amdhsa_user_sgpr_private_segment_size 0
		.amdhsa_uses_dynamic_stack 0
		.amdhsa_system_sgpr_private_segment_wavefront_offset 0
		.amdhsa_system_sgpr_workgroup_id_x 1
		.amdhsa_system_sgpr_workgroup_id_y 1
		.amdhsa_system_sgpr_workgroup_id_z 0
		.amdhsa_system_sgpr_workgroup_info 0
		.amdhsa_system_vgpr_workitem_id 1
		.amdhsa_next_free_vgpr 15
		.amdhsa_next_free_sgpr 26
		.amdhsa_reserve_vcc 1
		.amdhsa_reserve_flat_scratch 0
		.amdhsa_float_round_mode_32 0
		.amdhsa_float_round_mode_16_64 0
		.amdhsa_float_denorm_mode_32 3
		.amdhsa_float_denorm_mode_16_64 3
		.amdhsa_dx10_clamp 1
		.amdhsa_ieee_mode 1
		.amdhsa_fp16_overflow 0
		.amdhsa_exception_fp_ieee_invalid_op 0
		.amdhsa_exception_fp_denorm_src 0
		.amdhsa_exception_fp_ieee_div_zero 0
		.amdhsa_exception_fp_ieee_overflow 0
		.amdhsa_exception_fp_ieee_underflow 0
		.amdhsa_exception_fp_ieee_inexact 0
		.amdhsa_exception_int_div_zero 0
	.end_amdhsa_kernel
	.section	.text._ZN4RAJA8internal22HipKernelLauncherFixedILi256ENS0_8LoopDataIN4camp5tupleIJNS_4SpanINS_9Iterators16numeric_iteratorIllPlEElEESA_SA_EEENS4_IJdEEENS3_9resources2v13HipEJZN8rajaperf9polybench13POLYBENCH_3MM17runHipVariantImplILm256EEEvNSG_9VariantIDEEUlRdE0_ZNSJ_ILm256EEEvSK_EUllllSL_E0_ZNSJ_ILm256EEEvSK_EUlllSL_E0_EEENS0_24HipStatementListExecutorISP_NS3_4listIJNS_9statement3ForILl0ENS_6policy3hip11hip_indexerINS_17iteration_mapping6DirectELNS_23kernel_sync_requirementE0EJNS_3hip11IndexGlobalILNS_9named_dimE1ELi8ELi0EEEEEEJNST_ILl1ENSW_ISY_LSZ_0EJNS11_ILS12_0ELi32ELi0EEEEEEJNSS_6LambdaILl0EJNSR_IJNS0_9LambdaArgINS0_18lambda_arg_param_tELl0EEEEEEEEENST_ILl2ENSU_10sequential8seq_execEJNS17_ILl1EJNSR_IJNS18_INS0_16lambda_arg_seg_tELl0EEENS18_IS1F_Ll1EEENS18_IS1F_Ll2EEEEEES1B_EEEEEENS17_ILl2EJNSR_IJS1G_S1H_EEES1B_EEEEEEEEEEEENS0_9LoopTypesINSR_IJvvvEEES1S_EEEEEEvT0_,"axG",@progbits,_ZN4RAJA8internal22HipKernelLauncherFixedILi256ENS0_8LoopDataIN4camp5tupleIJNS_4SpanINS_9Iterators16numeric_iteratorIllPlEElEESA_SA_EEENS4_IJdEEENS3_9resources2v13HipEJZN8rajaperf9polybench13POLYBENCH_3MM17runHipVariantImplILm256EEEvNSG_9VariantIDEEUlRdE0_ZNSJ_ILm256EEEvSK_EUllllSL_E0_ZNSJ_ILm256EEEvSK_EUlllSL_E0_EEENS0_24HipStatementListExecutorISP_NS3_4listIJNS_9statement3ForILl0ENS_6policy3hip11hip_indexerINS_17iteration_mapping6DirectELNS_23kernel_sync_requirementE0EJNS_3hip11IndexGlobalILNS_9named_dimE1ELi8ELi0EEEEEEJNST_ILl1ENSW_ISY_LSZ_0EJNS11_ILS12_0ELi32ELi0EEEEEEJNSS_6LambdaILl0EJNSR_IJNS0_9LambdaArgINS0_18lambda_arg_param_tELl0EEEEEEEEENST_ILl2ENSU_10sequential8seq_execEJNS17_ILl1EJNSR_IJNS18_INS0_16lambda_arg_seg_tELl0EEENS18_IS1F_Ll1EEENS18_IS1F_Ll2EEEEEES1B_EEEEEENS17_ILl2EJNSR_IJS1G_S1H_EEES1B_EEEEEEEEEEEENS0_9LoopTypesINSR_IJvvvEEES1S_EEEEEEvT0_,comdat
.Lfunc_end7:
	.size	_ZN4RAJA8internal22HipKernelLauncherFixedILi256ENS0_8LoopDataIN4camp5tupleIJNS_4SpanINS_9Iterators16numeric_iteratorIllPlEElEESA_SA_EEENS4_IJdEEENS3_9resources2v13HipEJZN8rajaperf9polybench13POLYBENCH_3MM17runHipVariantImplILm256EEEvNSG_9VariantIDEEUlRdE0_ZNSJ_ILm256EEEvSK_EUllllSL_E0_ZNSJ_ILm256EEEvSK_EUlllSL_E0_EEENS0_24HipStatementListExecutorISP_NS3_4listIJNS_9statement3ForILl0ENS_6policy3hip11hip_indexerINS_17iteration_mapping6DirectELNS_23kernel_sync_requirementE0EJNS_3hip11IndexGlobalILNS_9named_dimE1ELi8ELi0EEEEEEJNST_ILl1ENSW_ISY_LSZ_0EJNS11_ILS12_0ELi32ELi0EEEEEEJNSS_6LambdaILl0EJNSR_IJNS0_9LambdaArgINS0_18lambda_arg_param_tELl0EEEEEEEEENST_ILl2ENSU_10sequential8seq_execEJNS17_ILl1EJNSR_IJNS18_INS0_16lambda_arg_seg_tELl0EEENS18_IS1F_Ll1EEENS18_IS1F_Ll2EEEEEES1B_EEEEEENS17_ILl2EJNSR_IJS1G_S1H_EEES1B_EEEEEEEEEEEENS0_9LoopTypesINSR_IJvvvEEES1S_EEEEEEvT0_, .Lfunc_end7-_ZN4RAJA8internal22HipKernelLauncherFixedILi256ENS0_8LoopDataIN4camp5tupleIJNS_4SpanINS_9Iterators16numeric_iteratorIllPlEElEESA_SA_EEENS4_IJdEEENS3_9resources2v13HipEJZN8rajaperf9polybench13POLYBENCH_3MM17runHipVariantImplILm256EEEvNSG_9VariantIDEEUlRdE0_ZNSJ_ILm256EEEvSK_EUllllSL_E0_ZNSJ_ILm256EEEvSK_EUlllSL_E0_EEENS0_24HipStatementListExecutorISP_NS3_4listIJNS_9statement3ForILl0ENS_6policy3hip11hip_indexerINS_17iteration_mapping6DirectELNS_23kernel_sync_requirementE0EJNS_3hip11IndexGlobalILNS_9named_dimE1ELi8ELi0EEEEEEJNST_ILl1ENSW_ISY_LSZ_0EJNS11_ILS12_0ELi32ELi0EEEEEEJNSS_6LambdaILl0EJNSR_IJNS0_9LambdaArgINS0_18lambda_arg_param_tELl0EEEEEEEEENST_ILl2ENSU_10sequential8seq_execEJNS17_ILl1EJNSR_IJNS18_INS0_16lambda_arg_seg_tELl0EEENS18_IS1F_Ll1EEENS18_IS1F_Ll2EEEEEES1B_EEEEEENS17_ILl2EJNSR_IJS1G_S1H_EEES1B_EEEEEEEEEEEENS0_9LoopTypesINSR_IJvvvEEES1S_EEEEEEvT0_
                                        ; -- End function
	.set _ZN4RAJA8internal22HipKernelLauncherFixedILi256ENS0_8LoopDataIN4camp5tupleIJNS_4SpanINS_9Iterators16numeric_iteratorIllPlEElEESA_SA_EEENS4_IJdEEENS3_9resources2v13HipEJZN8rajaperf9polybench13POLYBENCH_3MM17runHipVariantImplILm256EEEvNSG_9VariantIDEEUlRdE0_ZNSJ_ILm256EEEvSK_EUllllSL_E0_ZNSJ_ILm256EEEvSK_EUlllSL_E0_EEENS0_24HipStatementListExecutorISP_NS3_4listIJNS_9statement3ForILl0ENS_6policy3hip11hip_indexerINS_17iteration_mapping6DirectELNS_23kernel_sync_requirementE0EJNS_3hip11IndexGlobalILNS_9named_dimE1ELi8ELi0EEEEEEJNST_ILl1ENSW_ISY_LSZ_0EJNS11_ILS12_0ELi32ELi0EEEEEEJNSS_6LambdaILl0EJNSR_IJNS0_9LambdaArgINS0_18lambda_arg_param_tELl0EEEEEEEEENST_ILl2ENSU_10sequential8seq_execEJNS17_ILl1EJNSR_IJNS18_INS0_16lambda_arg_seg_tELl0EEENS18_IS1F_Ll1EEENS18_IS1F_Ll2EEEEEES1B_EEEEEENS17_ILl2EJNSR_IJS1G_S1H_EEES1B_EEEEEEEEEEEENS0_9LoopTypesINSR_IJvvvEEES1S_EEEEEEvT0_.num_vgpr, 15
	.set _ZN4RAJA8internal22HipKernelLauncherFixedILi256ENS0_8LoopDataIN4camp5tupleIJNS_4SpanINS_9Iterators16numeric_iteratorIllPlEElEESA_SA_EEENS4_IJdEEENS3_9resources2v13HipEJZN8rajaperf9polybench13POLYBENCH_3MM17runHipVariantImplILm256EEEvNSG_9VariantIDEEUlRdE0_ZNSJ_ILm256EEEvSK_EUllllSL_E0_ZNSJ_ILm256EEEvSK_EUlllSL_E0_EEENS0_24HipStatementListExecutorISP_NS3_4listIJNS_9statement3ForILl0ENS_6policy3hip11hip_indexerINS_17iteration_mapping6DirectELNS_23kernel_sync_requirementE0EJNS_3hip11IndexGlobalILNS_9named_dimE1ELi8ELi0EEEEEEJNST_ILl1ENSW_ISY_LSZ_0EJNS11_ILS12_0ELi32ELi0EEEEEEJNSS_6LambdaILl0EJNSR_IJNS0_9LambdaArgINS0_18lambda_arg_param_tELl0EEEEEEEEENST_ILl2ENSU_10sequential8seq_execEJNS17_ILl1EJNSR_IJNS18_INS0_16lambda_arg_seg_tELl0EEENS18_IS1F_Ll1EEENS18_IS1F_Ll2EEEEEES1B_EEEEEENS17_ILl2EJNSR_IJS1G_S1H_EEES1B_EEEEEEEEEEEENS0_9LoopTypesINSR_IJvvvEEES1S_EEEEEEvT0_.num_agpr, 0
	.set _ZN4RAJA8internal22HipKernelLauncherFixedILi256ENS0_8LoopDataIN4camp5tupleIJNS_4SpanINS_9Iterators16numeric_iteratorIllPlEElEESA_SA_EEENS4_IJdEEENS3_9resources2v13HipEJZN8rajaperf9polybench13POLYBENCH_3MM17runHipVariantImplILm256EEEvNSG_9VariantIDEEUlRdE0_ZNSJ_ILm256EEEvSK_EUllllSL_E0_ZNSJ_ILm256EEEvSK_EUlllSL_E0_EEENS0_24HipStatementListExecutorISP_NS3_4listIJNS_9statement3ForILl0ENS_6policy3hip11hip_indexerINS_17iteration_mapping6DirectELNS_23kernel_sync_requirementE0EJNS_3hip11IndexGlobalILNS_9named_dimE1ELi8ELi0EEEEEEJNST_ILl1ENSW_ISY_LSZ_0EJNS11_ILS12_0ELi32ELi0EEEEEEJNSS_6LambdaILl0EJNSR_IJNS0_9LambdaArgINS0_18lambda_arg_param_tELl0EEEEEEEEENST_ILl2ENSU_10sequential8seq_execEJNS17_ILl1EJNSR_IJNS18_INS0_16lambda_arg_seg_tELl0EEENS18_IS1F_Ll1EEENS18_IS1F_Ll2EEEEEES1B_EEEEEENS17_ILl2EJNSR_IJS1G_S1H_EEES1B_EEEEEEEEEEEENS0_9LoopTypesINSR_IJvvvEEES1S_EEEEEEvT0_.numbered_sgpr, 26
	.set _ZN4RAJA8internal22HipKernelLauncherFixedILi256ENS0_8LoopDataIN4camp5tupleIJNS_4SpanINS_9Iterators16numeric_iteratorIllPlEElEESA_SA_EEENS4_IJdEEENS3_9resources2v13HipEJZN8rajaperf9polybench13POLYBENCH_3MM17runHipVariantImplILm256EEEvNSG_9VariantIDEEUlRdE0_ZNSJ_ILm256EEEvSK_EUllllSL_E0_ZNSJ_ILm256EEEvSK_EUlllSL_E0_EEENS0_24HipStatementListExecutorISP_NS3_4listIJNS_9statement3ForILl0ENS_6policy3hip11hip_indexerINS_17iteration_mapping6DirectELNS_23kernel_sync_requirementE0EJNS_3hip11IndexGlobalILNS_9named_dimE1ELi8ELi0EEEEEEJNST_ILl1ENSW_ISY_LSZ_0EJNS11_ILS12_0ELi32ELi0EEEEEEJNSS_6LambdaILl0EJNSR_IJNS0_9LambdaArgINS0_18lambda_arg_param_tELl0EEEEEEEEENST_ILl2ENSU_10sequential8seq_execEJNS17_ILl1EJNSR_IJNS18_INS0_16lambda_arg_seg_tELl0EEENS18_IS1F_Ll1EEENS18_IS1F_Ll2EEEEEES1B_EEEEEENS17_ILl2EJNSR_IJS1G_S1H_EEES1B_EEEEEEEEEEEENS0_9LoopTypesINSR_IJvvvEEES1S_EEEEEEvT0_.num_named_barrier, 0
	.set _ZN4RAJA8internal22HipKernelLauncherFixedILi256ENS0_8LoopDataIN4camp5tupleIJNS_4SpanINS_9Iterators16numeric_iteratorIllPlEElEESA_SA_EEENS4_IJdEEENS3_9resources2v13HipEJZN8rajaperf9polybench13POLYBENCH_3MM17runHipVariantImplILm256EEEvNSG_9VariantIDEEUlRdE0_ZNSJ_ILm256EEEvSK_EUllllSL_E0_ZNSJ_ILm256EEEvSK_EUlllSL_E0_EEENS0_24HipStatementListExecutorISP_NS3_4listIJNS_9statement3ForILl0ENS_6policy3hip11hip_indexerINS_17iteration_mapping6DirectELNS_23kernel_sync_requirementE0EJNS_3hip11IndexGlobalILNS_9named_dimE1ELi8ELi0EEEEEEJNST_ILl1ENSW_ISY_LSZ_0EJNS11_ILS12_0ELi32ELi0EEEEEEJNSS_6LambdaILl0EJNSR_IJNS0_9LambdaArgINS0_18lambda_arg_param_tELl0EEEEEEEEENST_ILl2ENSU_10sequential8seq_execEJNS17_ILl1EJNSR_IJNS18_INS0_16lambda_arg_seg_tELl0EEENS18_IS1F_Ll1EEENS18_IS1F_Ll2EEEEEES1B_EEEEEENS17_ILl2EJNSR_IJS1G_S1H_EEES1B_EEEEEEEEEEEENS0_9LoopTypesINSR_IJvvvEEES1S_EEEEEEvT0_.private_seg_size, 0
	.set _ZN4RAJA8internal22HipKernelLauncherFixedILi256ENS0_8LoopDataIN4camp5tupleIJNS_4SpanINS_9Iterators16numeric_iteratorIllPlEElEESA_SA_EEENS4_IJdEEENS3_9resources2v13HipEJZN8rajaperf9polybench13POLYBENCH_3MM17runHipVariantImplILm256EEEvNSG_9VariantIDEEUlRdE0_ZNSJ_ILm256EEEvSK_EUllllSL_E0_ZNSJ_ILm256EEEvSK_EUlllSL_E0_EEENS0_24HipStatementListExecutorISP_NS3_4listIJNS_9statement3ForILl0ENS_6policy3hip11hip_indexerINS_17iteration_mapping6DirectELNS_23kernel_sync_requirementE0EJNS_3hip11IndexGlobalILNS_9named_dimE1ELi8ELi0EEEEEEJNST_ILl1ENSW_ISY_LSZ_0EJNS11_ILS12_0ELi32ELi0EEEEEEJNSS_6LambdaILl0EJNSR_IJNS0_9LambdaArgINS0_18lambda_arg_param_tELl0EEEEEEEEENST_ILl2ENSU_10sequential8seq_execEJNS17_ILl1EJNSR_IJNS18_INS0_16lambda_arg_seg_tELl0EEENS18_IS1F_Ll1EEENS18_IS1F_Ll2EEEEEES1B_EEEEEENS17_ILl2EJNSR_IJS1G_S1H_EEES1B_EEEEEEEEEEEENS0_9LoopTypesINSR_IJvvvEEES1S_EEEEEEvT0_.uses_vcc, 1
	.set _ZN4RAJA8internal22HipKernelLauncherFixedILi256ENS0_8LoopDataIN4camp5tupleIJNS_4SpanINS_9Iterators16numeric_iteratorIllPlEElEESA_SA_EEENS4_IJdEEENS3_9resources2v13HipEJZN8rajaperf9polybench13POLYBENCH_3MM17runHipVariantImplILm256EEEvNSG_9VariantIDEEUlRdE0_ZNSJ_ILm256EEEvSK_EUllllSL_E0_ZNSJ_ILm256EEEvSK_EUlllSL_E0_EEENS0_24HipStatementListExecutorISP_NS3_4listIJNS_9statement3ForILl0ENS_6policy3hip11hip_indexerINS_17iteration_mapping6DirectELNS_23kernel_sync_requirementE0EJNS_3hip11IndexGlobalILNS_9named_dimE1ELi8ELi0EEEEEEJNST_ILl1ENSW_ISY_LSZ_0EJNS11_ILS12_0ELi32ELi0EEEEEEJNSS_6LambdaILl0EJNSR_IJNS0_9LambdaArgINS0_18lambda_arg_param_tELl0EEEEEEEEENST_ILl2ENSU_10sequential8seq_execEJNS17_ILl1EJNSR_IJNS18_INS0_16lambda_arg_seg_tELl0EEENS18_IS1F_Ll1EEENS18_IS1F_Ll2EEEEEES1B_EEEEEENS17_ILl2EJNSR_IJS1G_S1H_EEES1B_EEEEEEEEEEEENS0_9LoopTypesINSR_IJvvvEEES1S_EEEEEEvT0_.uses_flat_scratch, 0
	.set _ZN4RAJA8internal22HipKernelLauncherFixedILi256ENS0_8LoopDataIN4camp5tupleIJNS_4SpanINS_9Iterators16numeric_iteratorIllPlEElEESA_SA_EEENS4_IJdEEENS3_9resources2v13HipEJZN8rajaperf9polybench13POLYBENCH_3MM17runHipVariantImplILm256EEEvNSG_9VariantIDEEUlRdE0_ZNSJ_ILm256EEEvSK_EUllllSL_E0_ZNSJ_ILm256EEEvSK_EUlllSL_E0_EEENS0_24HipStatementListExecutorISP_NS3_4listIJNS_9statement3ForILl0ENS_6policy3hip11hip_indexerINS_17iteration_mapping6DirectELNS_23kernel_sync_requirementE0EJNS_3hip11IndexGlobalILNS_9named_dimE1ELi8ELi0EEEEEEJNST_ILl1ENSW_ISY_LSZ_0EJNS11_ILS12_0ELi32ELi0EEEEEEJNSS_6LambdaILl0EJNSR_IJNS0_9LambdaArgINS0_18lambda_arg_param_tELl0EEEEEEEEENST_ILl2ENSU_10sequential8seq_execEJNS17_ILl1EJNSR_IJNS18_INS0_16lambda_arg_seg_tELl0EEENS18_IS1F_Ll1EEENS18_IS1F_Ll2EEEEEES1B_EEEEEENS17_ILl2EJNSR_IJS1G_S1H_EEES1B_EEEEEEEEEEEENS0_9LoopTypesINSR_IJvvvEEES1S_EEEEEEvT0_.has_dyn_sized_stack, 0
	.set _ZN4RAJA8internal22HipKernelLauncherFixedILi256ENS0_8LoopDataIN4camp5tupleIJNS_4SpanINS_9Iterators16numeric_iteratorIllPlEElEESA_SA_EEENS4_IJdEEENS3_9resources2v13HipEJZN8rajaperf9polybench13POLYBENCH_3MM17runHipVariantImplILm256EEEvNSG_9VariantIDEEUlRdE0_ZNSJ_ILm256EEEvSK_EUllllSL_E0_ZNSJ_ILm256EEEvSK_EUlllSL_E0_EEENS0_24HipStatementListExecutorISP_NS3_4listIJNS_9statement3ForILl0ENS_6policy3hip11hip_indexerINS_17iteration_mapping6DirectELNS_23kernel_sync_requirementE0EJNS_3hip11IndexGlobalILNS_9named_dimE1ELi8ELi0EEEEEEJNST_ILl1ENSW_ISY_LSZ_0EJNS11_ILS12_0ELi32ELi0EEEEEEJNSS_6LambdaILl0EJNSR_IJNS0_9LambdaArgINS0_18lambda_arg_param_tELl0EEEEEEEEENST_ILl2ENSU_10sequential8seq_execEJNS17_ILl1EJNSR_IJNS18_INS0_16lambda_arg_seg_tELl0EEENS18_IS1F_Ll1EEENS18_IS1F_Ll2EEEEEES1B_EEEEEENS17_ILl2EJNSR_IJS1G_S1H_EEES1B_EEEEEEEEEEEENS0_9LoopTypesINSR_IJvvvEEES1S_EEEEEEvT0_.has_recursion, 0
	.set _ZN4RAJA8internal22HipKernelLauncherFixedILi256ENS0_8LoopDataIN4camp5tupleIJNS_4SpanINS_9Iterators16numeric_iteratorIllPlEElEESA_SA_EEENS4_IJdEEENS3_9resources2v13HipEJZN8rajaperf9polybench13POLYBENCH_3MM17runHipVariantImplILm256EEEvNSG_9VariantIDEEUlRdE0_ZNSJ_ILm256EEEvSK_EUllllSL_E0_ZNSJ_ILm256EEEvSK_EUlllSL_E0_EEENS0_24HipStatementListExecutorISP_NS3_4listIJNS_9statement3ForILl0ENS_6policy3hip11hip_indexerINS_17iteration_mapping6DirectELNS_23kernel_sync_requirementE0EJNS_3hip11IndexGlobalILNS_9named_dimE1ELi8ELi0EEEEEEJNST_ILl1ENSW_ISY_LSZ_0EJNS11_ILS12_0ELi32ELi0EEEEEEJNSS_6LambdaILl0EJNSR_IJNS0_9LambdaArgINS0_18lambda_arg_param_tELl0EEEEEEEEENST_ILl2ENSU_10sequential8seq_execEJNS17_ILl1EJNSR_IJNS18_INS0_16lambda_arg_seg_tELl0EEENS18_IS1F_Ll1EEENS18_IS1F_Ll2EEEEEES1B_EEEEEENS17_ILl2EJNSR_IJS1G_S1H_EEES1B_EEEEEEEEEEEENS0_9LoopTypesINSR_IJvvvEEES1S_EEEEEEvT0_.has_indirect_call, 0
	.section	.AMDGPU.csdata,"",@progbits
; Kernel info:
; codeLenInByte = 592
; TotalNumSgprs: 30
; NumVgprs: 15
; ScratchSize: 0
; MemoryBound: 1
; FloatMode: 240
; IeeeMode: 1
; LDSByteSize: 0 bytes/workgroup (compile time only)
; SGPRBlocks: 3
; VGPRBlocks: 3
; NumSGPRsForWavesPerEU: 30
; NumVGPRsForWavesPerEU: 15
; Occupancy: 10
; WaveLimiterHint : 0
; COMPUTE_PGM_RSRC2:SCRATCH_EN: 0
; COMPUTE_PGM_RSRC2:USER_SGPR: 6
; COMPUTE_PGM_RSRC2:TRAP_HANDLER: 0
; COMPUTE_PGM_RSRC2:TGID_X_EN: 1
; COMPUTE_PGM_RSRC2:TGID_Y_EN: 1
; COMPUTE_PGM_RSRC2:TGID_Z_EN: 0
; COMPUTE_PGM_RSRC2:TIDIG_COMP_CNT: 1
	.section	.text._ZN4RAJA8internal22HipKernelLauncherFixedILi256ENS0_8LoopDataIN4camp5tupleIJNS_4SpanINS_9Iterators16numeric_iteratorIllPlEElEESA_SA_EEENS4_IJdEEENS3_9resources2v13HipEJZN8rajaperf9polybench13POLYBENCH_3MM17runHipVariantImplILm256EEEvNSG_9VariantIDEEUlRdE1_ZNSJ_ILm256EEEvSK_EUllllSL_E1_ZNSJ_ILm256EEEvSK_EUlllSL_E1_EEENS0_24HipStatementListExecutorISP_NS3_4listIJNS_9statement3ForILl0ENS_6policy3hip11hip_indexerINS_17iteration_mapping6DirectELNS_23kernel_sync_requirementE0EJNS_3hip11IndexGlobalILNS_9named_dimE1ELi8ELi0EEEEEEJNST_ILl1ENSW_ISY_LSZ_0EJNS11_ILS12_0ELi32ELi0EEEEEEJNSS_6LambdaILl0EJNSR_IJNS0_9LambdaArgINS0_18lambda_arg_param_tELl0EEEEEEEEENST_ILl2ENSU_10sequential8seq_execEJNS17_ILl1EJNSR_IJNS18_INS0_16lambda_arg_seg_tELl0EEENS18_IS1F_Ll1EEENS18_IS1F_Ll2EEEEEES1B_EEEEEENS17_ILl2EJNSR_IJS1G_S1H_EEES1B_EEEEEEEEEEEENS0_9LoopTypesINSR_IJvvvEEES1S_EEEEEEvT0_,"axG",@progbits,_ZN4RAJA8internal22HipKernelLauncherFixedILi256ENS0_8LoopDataIN4camp5tupleIJNS_4SpanINS_9Iterators16numeric_iteratorIllPlEElEESA_SA_EEENS4_IJdEEENS3_9resources2v13HipEJZN8rajaperf9polybench13POLYBENCH_3MM17runHipVariantImplILm256EEEvNSG_9VariantIDEEUlRdE1_ZNSJ_ILm256EEEvSK_EUllllSL_E1_ZNSJ_ILm256EEEvSK_EUlllSL_E1_EEENS0_24HipStatementListExecutorISP_NS3_4listIJNS_9statement3ForILl0ENS_6policy3hip11hip_indexerINS_17iteration_mapping6DirectELNS_23kernel_sync_requirementE0EJNS_3hip11IndexGlobalILNS_9named_dimE1ELi8ELi0EEEEEEJNST_ILl1ENSW_ISY_LSZ_0EJNS11_ILS12_0ELi32ELi0EEEEEEJNSS_6LambdaILl0EJNSR_IJNS0_9LambdaArgINS0_18lambda_arg_param_tELl0EEEEEEEEENST_ILl2ENSU_10sequential8seq_execEJNS17_ILl1EJNSR_IJNS18_INS0_16lambda_arg_seg_tELl0EEENS18_IS1F_Ll1EEENS18_IS1F_Ll2EEEEEES1B_EEEEEENS17_ILl2EJNSR_IJS1G_S1H_EEES1B_EEEEEEEEEEEENS0_9LoopTypesINSR_IJvvvEEES1S_EEEEEEvT0_,comdat
	.protected	_ZN4RAJA8internal22HipKernelLauncherFixedILi256ENS0_8LoopDataIN4camp5tupleIJNS_4SpanINS_9Iterators16numeric_iteratorIllPlEElEESA_SA_EEENS4_IJdEEENS3_9resources2v13HipEJZN8rajaperf9polybench13POLYBENCH_3MM17runHipVariantImplILm256EEEvNSG_9VariantIDEEUlRdE1_ZNSJ_ILm256EEEvSK_EUllllSL_E1_ZNSJ_ILm256EEEvSK_EUlllSL_E1_EEENS0_24HipStatementListExecutorISP_NS3_4listIJNS_9statement3ForILl0ENS_6policy3hip11hip_indexerINS_17iteration_mapping6DirectELNS_23kernel_sync_requirementE0EJNS_3hip11IndexGlobalILNS_9named_dimE1ELi8ELi0EEEEEEJNST_ILl1ENSW_ISY_LSZ_0EJNS11_ILS12_0ELi32ELi0EEEEEEJNSS_6LambdaILl0EJNSR_IJNS0_9LambdaArgINS0_18lambda_arg_param_tELl0EEEEEEEEENST_ILl2ENSU_10sequential8seq_execEJNS17_ILl1EJNSR_IJNS18_INS0_16lambda_arg_seg_tELl0EEENS18_IS1F_Ll1EEENS18_IS1F_Ll2EEEEEES1B_EEEEEENS17_ILl2EJNSR_IJS1G_S1H_EEES1B_EEEEEEEEEEEENS0_9LoopTypesINSR_IJvvvEEES1S_EEEEEEvT0_ ; -- Begin function _ZN4RAJA8internal22HipKernelLauncherFixedILi256ENS0_8LoopDataIN4camp5tupleIJNS_4SpanINS_9Iterators16numeric_iteratorIllPlEElEESA_SA_EEENS4_IJdEEENS3_9resources2v13HipEJZN8rajaperf9polybench13POLYBENCH_3MM17runHipVariantImplILm256EEEvNSG_9VariantIDEEUlRdE1_ZNSJ_ILm256EEEvSK_EUllllSL_E1_ZNSJ_ILm256EEEvSK_EUlllSL_E1_EEENS0_24HipStatementListExecutorISP_NS3_4listIJNS_9statement3ForILl0ENS_6policy3hip11hip_indexerINS_17iteration_mapping6DirectELNS_23kernel_sync_requirementE0EJNS_3hip11IndexGlobalILNS_9named_dimE1ELi8ELi0EEEEEEJNST_ILl1ENSW_ISY_LSZ_0EJNS11_ILS12_0ELi32ELi0EEEEEEJNSS_6LambdaILl0EJNSR_IJNS0_9LambdaArgINS0_18lambda_arg_param_tELl0EEEEEEEEENST_ILl2ENSU_10sequential8seq_execEJNS17_ILl1EJNSR_IJNS18_INS0_16lambda_arg_seg_tELl0EEENS18_IS1F_Ll1EEENS18_IS1F_Ll2EEEEEES1B_EEEEEENS17_ILl2EJNSR_IJS1G_S1H_EEES1B_EEEEEEEEEEEENS0_9LoopTypesINSR_IJvvvEEES1S_EEEEEEvT0_
	.globl	_ZN4RAJA8internal22HipKernelLauncherFixedILi256ENS0_8LoopDataIN4camp5tupleIJNS_4SpanINS_9Iterators16numeric_iteratorIllPlEElEESA_SA_EEENS4_IJdEEENS3_9resources2v13HipEJZN8rajaperf9polybench13POLYBENCH_3MM17runHipVariantImplILm256EEEvNSG_9VariantIDEEUlRdE1_ZNSJ_ILm256EEEvSK_EUllllSL_E1_ZNSJ_ILm256EEEvSK_EUlllSL_E1_EEENS0_24HipStatementListExecutorISP_NS3_4listIJNS_9statement3ForILl0ENS_6policy3hip11hip_indexerINS_17iteration_mapping6DirectELNS_23kernel_sync_requirementE0EJNS_3hip11IndexGlobalILNS_9named_dimE1ELi8ELi0EEEEEEJNST_ILl1ENSW_ISY_LSZ_0EJNS11_ILS12_0ELi32ELi0EEEEEEJNSS_6LambdaILl0EJNSR_IJNS0_9LambdaArgINS0_18lambda_arg_param_tELl0EEEEEEEEENST_ILl2ENSU_10sequential8seq_execEJNS17_ILl1EJNSR_IJNS18_INS0_16lambda_arg_seg_tELl0EEENS18_IS1F_Ll1EEENS18_IS1F_Ll2EEEEEES1B_EEEEEENS17_ILl2EJNSR_IJS1G_S1H_EEES1B_EEEEEEEEEEEENS0_9LoopTypesINSR_IJvvvEEES1S_EEEEEEvT0_
	.p2align	8
	.type	_ZN4RAJA8internal22HipKernelLauncherFixedILi256ENS0_8LoopDataIN4camp5tupleIJNS_4SpanINS_9Iterators16numeric_iteratorIllPlEElEESA_SA_EEENS4_IJdEEENS3_9resources2v13HipEJZN8rajaperf9polybench13POLYBENCH_3MM17runHipVariantImplILm256EEEvNSG_9VariantIDEEUlRdE1_ZNSJ_ILm256EEEvSK_EUllllSL_E1_ZNSJ_ILm256EEEvSK_EUlllSL_E1_EEENS0_24HipStatementListExecutorISP_NS3_4listIJNS_9statement3ForILl0ENS_6policy3hip11hip_indexerINS_17iteration_mapping6DirectELNS_23kernel_sync_requirementE0EJNS_3hip11IndexGlobalILNS_9named_dimE1ELi8ELi0EEEEEEJNST_ILl1ENSW_ISY_LSZ_0EJNS11_ILS12_0ELi32ELi0EEEEEEJNSS_6LambdaILl0EJNSR_IJNS0_9LambdaArgINS0_18lambda_arg_param_tELl0EEEEEEEEENST_ILl2ENSU_10sequential8seq_execEJNS17_ILl1EJNSR_IJNS18_INS0_16lambda_arg_seg_tELl0EEENS18_IS1F_Ll1EEENS18_IS1F_Ll2EEEEEES1B_EEEEEENS17_ILl2EJNSR_IJS1G_S1H_EEES1B_EEEEEEEEEEEENS0_9LoopTypesINSR_IJvvvEEES1S_EEEEEEvT0_,@function
_ZN4RAJA8internal22HipKernelLauncherFixedILi256ENS0_8LoopDataIN4camp5tupleIJNS_4SpanINS_9Iterators16numeric_iteratorIllPlEElEESA_SA_EEENS4_IJdEEENS3_9resources2v13HipEJZN8rajaperf9polybench13POLYBENCH_3MM17runHipVariantImplILm256EEEvNSG_9VariantIDEEUlRdE1_ZNSJ_ILm256EEEvSK_EUllllSL_E1_ZNSJ_ILm256EEEvSK_EUlllSL_E1_EEENS0_24HipStatementListExecutorISP_NS3_4listIJNS_9statement3ForILl0ENS_6policy3hip11hip_indexerINS_17iteration_mapping6DirectELNS_23kernel_sync_requirementE0EJNS_3hip11IndexGlobalILNS_9named_dimE1ELi8ELi0EEEEEEJNST_ILl1ENSW_ISY_LSZ_0EJNS11_ILS12_0ELi32ELi0EEEEEEJNSS_6LambdaILl0EJNSR_IJNS0_9LambdaArgINS0_18lambda_arg_param_tELl0EEEEEEEEENST_ILl2ENSU_10sequential8seq_execEJNS17_ILl1EJNSR_IJNS18_INS0_16lambda_arg_seg_tELl0EEENS18_IS1F_Ll1EEENS18_IS1F_Ll2EEEEEES1B_EEEEEENS17_ILl2EJNSR_IJS1G_S1H_EEES1B_EEEEEEEEEEEENS0_9LoopTypesINSR_IJvvvEEES1S_EEEEEEvT0_: ; @_ZN4RAJA8internal22HipKernelLauncherFixedILi256ENS0_8LoopDataIN4camp5tupleIJNS_4SpanINS_9Iterators16numeric_iteratorIllPlEElEESA_SA_EEENS4_IJdEEENS3_9resources2v13HipEJZN8rajaperf9polybench13POLYBENCH_3MM17runHipVariantImplILm256EEEvNSG_9VariantIDEEUlRdE1_ZNSJ_ILm256EEEvSK_EUllllSL_E1_ZNSJ_ILm256EEEvSK_EUlllSL_E1_EEENS0_24HipStatementListExecutorISP_NS3_4listIJNS_9statement3ForILl0ENS_6policy3hip11hip_indexerINS_17iteration_mapping6DirectELNS_23kernel_sync_requirementE0EJNS_3hip11IndexGlobalILNS_9named_dimE1ELi8ELi0EEEEEEJNST_ILl1ENSW_ISY_LSZ_0EJNS11_ILS12_0ELi32ELi0EEEEEEJNSS_6LambdaILl0EJNSR_IJNS0_9LambdaArgINS0_18lambda_arg_param_tELl0EEEEEEEEENST_ILl2ENSU_10sequential8seq_execEJNS17_ILl1EJNSR_IJNS18_INS0_16lambda_arg_seg_tELl0EEENS18_IS1F_Ll1EEENS18_IS1F_Ll2EEEEEES1B_EEEEEENS17_ILl2EJNSR_IJS1G_S1H_EEES1B_EEEEEEEEEEEENS0_9LoopTypesINSR_IJvvvEEES1S_EEEEEEvT0_
; %bb.0:
	s_load_dwordx8 s[8:15], s[4:5], 0x0
	s_load_dwordx4 s[16:19], s[4:5], 0x20
	s_load_dwordx2 s[22:23], s[4:5], 0x30
	s_load_dwordx2 s[2:3], s[4:5], 0xd8
	;; [unrolled: 1-line block ×3, first 2 shown]
	s_mov_b32 s0, s7
	s_waitcnt lgkmcnt(0)
	s_sub_u32 s10, s10, s8
	s_mov_b32 s1, 0
	s_subb_u32 s11, s11, s9
	s_lshl_b64 s[24:25], s[0:1], 3
	v_mov_b32_e32 v2, s25
	v_add_co_u32_e32 v1, vcc, s24, v1
	v_addc_co_u32_e32 v2, vcc, 0, v2, vcc
	v_cmp_gt_i64_e32 vcc, s[10:11], v[1:2]
	s_sub_u32 s10, s14, s12
	s_mov_b32 s7, s1
	s_subb_u32 s11, s15, s13
	s_lshl_b64 s[0:1], s[6:7], 5
	v_mov_b32_e32 v3, s1
	v_add_co_u32_e64 v5, s[0:1], s0, v0
	v_addc_co_u32_e64 v6, s[0:1], 0, v3, s[0:1]
	v_cmp_gt_i64_e64 s[0:1], s[10:11], v[5:6]
	v_mov_b32_e32 v3, s23
	s_and_b64 s[10:11], vcc, s[0:1]
	s_sub_u32 s14, s18, s16
	s_subb_u32 s15, s19, s17
	v_cmp_lt_i64_e64 s[0:1], s[14:15], 1
	v_cndmask_b32_e64 v4, v3, 0, s[10:11]
	v_mov_b32_e32 v3, s22
	v_cndmask_b32_e64 v3, v3, 0, s[10:11]
	s_and_b64 vcc, exec, s[0:1]
	s_cbranch_vccnz .LBB8_5
; %bb.1:
	s_load_dwordx2 s[0:1], s[4:5], 0x60
	v_mov_b32_e32 v7, s9
	v_add_co_u32_e32 v8, vcc, s8, v1
	v_addc_co_u32_e32 v7, vcc, v7, v2, vcc
	s_waitcnt lgkmcnt(0)
	v_mul_lo_u32 v9, s1, v8
	v_mul_lo_u32 v10, s0, v7
	v_mad_u64_u32 v[7:8], s[0:1], s0, v8, 0
	s_load_dwordx2 s[0:1], s[4:5], 0x48
	s_load_dwordx2 s[18:19], s[4:5], 0xa8
	s_load_dwordx2 s[22:23], s[4:5], 0x90
	s_lshl_b64 s[4:5], s[16:17], 3
	v_add3_u32 v8, v8, v10, v9
	v_lshlrev_b64 v[7:8], 3, v[7:8]
	s_waitcnt lgkmcnt(0)
	s_add_u32 s0, s0, s4
	s_addc_u32 s1, s1, s5
	v_mov_b32_e32 v9, s1
	v_add_co_u32_e32 v7, vcc, s0, v7
	s_mul_i32 s0, s16, s19
	s_mul_hi_u32 s1, s16, s18
	s_add_i32 s0, s1, s0
	s_mul_i32 s1, s17, s18
	s_add_i32 s1, s0, s1
	s_mul_i32 s0, s16, s18
	s_lshl_b64 s[0:1], s[0:1], 3
	s_lshl_b64 s[4:5], s[6:7], 8
	s_add_u32 s4, s0, s4
	s_addc_u32 s5, s1, s5
	s_lshl_b64 s[0:1], s[12:13], 3
	s_add_u32 s0, s4, s0
	s_addc_u32 s1, s5, s1
	s_add_u32 s0, s22, s0
	v_addc_co_u32_e32 v8, vcc, v9, v8, vcc
	v_lshlrev_b32_e32 v0, 3, v0
	s_addc_u32 s1, s23, s1
	v_mov_b32_e32 v10, s1
	v_add_co_u32_e32 v9, vcc, s0, v0
	v_addc_co_u32_e32 v10, vcc, 0, v10, vcc
	s_lshl_b64 s[4:5], s[18:19], 3
	s_mov_b64 s[6:7], 0
	s_branch .LBB8_3
.LBB8_2:                                ;   in Loop: Header=BB8_3 Depth=1
	s_or_b64 exec, exec, s[0:1]
	s_add_u32 s6, s6, 1
	v_add_co_u32_e32 v7, vcc, 8, v7
	v_mov_b32_e32 v11, s14
	s_addc_u32 s7, s7, 0
	v_addc_co_u32_e32 v8, vcc, 0, v8, vcc
	v_mov_b32_e32 v12, s15
	v_cmp_lt_i64_e32 vcc, s[6:7], v[11:12]
	v_mov_b32_e32 v0, s5
	v_add_co_u32_e64 v9, s[0:1], s4, v9
	v_addc_co_u32_e64 v10, s[0:1], v10, v0, s[0:1]
	s_cbranch_vccz .LBB8_5
.LBB8_3:                                ; =>This Inner Loop Header: Depth=1
	s_and_saveexec_b64 s[0:1], s[10:11]
	s_cbranch_execz .LBB8_2
; %bb.4:                                ;   in Loop: Header=BB8_3 Depth=1
	global_load_dwordx2 v[11:12], v[7:8], off
	global_load_dwordx2 v[13:14], v[9:10], off
	s_waitcnt vmcnt(0)
	v_fma_f64 v[3:4], v[11:12], v[13:14], v[3:4]
	s_branch .LBB8_2
.LBB8_5:
	s_and_saveexec_b64 s[0:1], s[10:11]
	s_cbranch_execz .LBB8_7
; %bb.6:
	v_mov_b32_e32 v0, s9
	v_add_co_u32_e32 v1, vcc, s8, v1
	v_addc_co_u32_e32 v0, vcc, v0, v2, vcc
	v_mul_lo_u32 v2, s21, v1
	v_mul_lo_u32 v7, s20, v0
	v_mad_u64_u32 v[0:1], s[0:1], s20, v1, 0
	v_lshlrev_b64 v[5:6], 3, v[5:6]
	s_lshl_b64 s[0:1], s[12:13], 3
	v_add3_u32 v1, v1, v7, v2
	v_mov_b32_e32 v2, s3
	v_add_co_u32_e32 v5, vcc, s2, v5
	v_addc_co_u32_e32 v2, vcc, v2, v6, vcc
	v_mov_b32_e32 v6, s1
	v_add_co_u32_e32 v5, vcc, s0, v5
	v_lshlrev_b64 v[0:1], 3, v[0:1]
	v_addc_co_u32_e32 v2, vcc, v2, v6, vcc
	v_add_co_u32_e32 v0, vcc, v5, v0
	v_addc_co_u32_e32 v1, vcc, v2, v1, vcc
	global_store_dwordx2 v[0:1], v[3:4], off
.LBB8_7:
	s_endpgm
	.section	.rodata,"a",@progbits
	.p2align	6, 0x0
	.amdhsa_kernel _ZN4RAJA8internal22HipKernelLauncherFixedILi256ENS0_8LoopDataIN4camp5tupleIJNS_4SpanINS_9Iterators16numeric_iteratorIllPlEElEESA_SA_EEENS4_IJdEEENS3_9resources2v13HipEJZN8rajaperf9polybench13POLYBENCH_3MM17runHipVariantImplILm256EEEvNSG_9VariantIDEEUlRdE1_ZNSJ_ILm256EEEvSK_EUllllSL_E1_ZNSJ_ILm256EEEvSK_EUlllSL_E1_EEENS0_24HipStatementListExecutorISP_NS3_4listIJNS_9statement3ForILl0ENS_6policy3hip11hip_indexerINS_17iteration_mapping6DirectELNS_23kernel_sync_requirementE0EJNS_3hip11IndexGlobalILNS_9named_dimE1ELi8ELi0EEEEEEJNST_ILl1ENSW_ISY_LSZ_0EJNS11_ILS12_0ELi32ELi0EEEEEEJNSS_6LambdaILl0EJNSR_IJNS0_9LambdaArgINS0_18lambda_arg_param_tELl0EEEEEEEEENST_ILl2ENSU_10sequential8seq_execEJNS17_ILl1EJNSR_IJNS18_INS0_16lambda_arg_seg_tELl0EEENS18_IS1F_Ll1EEENS18_IS1F_Ll2EEEEEES1B_EEEEEENS17_ILl2EJNSR_IJS1G_S1H_EEES1B_EEEEEEEEEEEENS0_9LoopTypesINSR_IJvvvEEES1S_EEEEEEvT0_
		.amdhsa_group_segment_fixed_size 0
		.amdhsa_private_segment_fixed_size 0
		.amdhsa_kernarg_size 328
		.amdhsa_user_sgpr_count 6
		.amdhsa_user_sgpr_private_segment_buffer 1
		.amdhsa_user_sgpr_dispatch_ptr 0
		.amdhsa_user_sgpr_queue_ptr 0
		.amdhsa_user_sgpr_kernarg_segment_ptr 1
		.amdhsa_user_sgpr_dispatch_id 0
		.amdhsa_user_sgpr_flat_scratch_init 0
		.amdhsa_user_sgpr_private_segment_size 0
		.amdhsa_uses_dynamic_stack 0
		.amdhsa_system_sgpr_private_segment_wavefront_offset 0
		.amdhsa_system_sgpr_workgroup_id_x 1
		.amdhsa_system_sgpr_workgroup_id_y 1
		.amdhsa_system_sgpr_workgroup_id_z 0
		.amdhsa_system_sgpr_workgroup_info 0
		.amdhsa_system_vgpr_workitem_id 1
		.amdhsa_next_free_vgpr 15
		.amdhsa_next_free_sgpr 26
		.amdhsa_reserve_vcc 1
		.amdhsa_reserve_flat_scratch 0
		.amdhsa_float_round_mode_32 0
		.amdhsa_float_round_mode_16_64 0
		.amdhsa_float_denorm_mode_32 3
		.amdhsa_float_denorm_mode_16_64 3
		.amdhsa_dx10_clamp 1
		.amdhsa_ieee_mode 1
		.amdhsa_fp16_overflow 0
		.amdhsa_exception_fp_ieee_invalid_op 0
		.amdhsa_exception_fp_denorm_src 0
		.amdhsa_exception_fp_ieee_div_zero 0
		.amdhsa_exception_fp_ieee_overflow 0
		.amdhsa_exception_fp_ieee_underflow 0
		.amdhsa_exception_fp_ieee_inexact 0
		.amdhsa_exception_int_div_zero 0
	.end_amdhsa_kernel
	.section	.text._ZN4RAJA8internal22HipKernelLauncherFixedILi256ENS0_8LoopDataIN4camp5tupleIJNS_4SpanINS_9Iterators16numeric_iteratorIllPlEElEESA_SA_EEENS4_IJdEEENS3_9resources2v13HipEJZN8rajaperf9polybench13POLYBENCH_3MM17runHipVariantImplILm256EEEvNSG_9VariantIDEEUlRdE1_ZNSJ_ILm256EEEvSK_EUllllSL_E1_ZNSJ_ILm256EEEvSK_EUlllSL_E1_EEENS0_24HipStatementListExecutorISP_NS3_4listIJNS_9statement3ForILl0ENS_6policy3hip11hip_indexerINS_17iteration_mapping6DirectELNS_23kernel_sync_requirementE0EJNS_3hip11IndexGlobalILNS_9named_dimE1ELi8ELi0EEEEEEJNST_ILl1ENSW_ISY_LSZ_0EJNS11_ILS12_0ELi32ELi0EEEEEEJNSS_6LambdaILl0EJNSR_IJNS0_9LambdaArgINS0_18lambda_arg_param_tELl0EEEEEEEEENST_ILl2ENSU_10sequential8seq_execEJNS17_ILl1EJNSR_IJNS18_INS0_16lambda_arg_seg_tELl0EEENS18_IS1F_Ll1EEENS18_IS1F_Ll2EEEEEES1B_EEEEEENS17_ILl2EJNSR_IJS1G_S1H_EEES1B_EEEEEEEEEEEENS0_9LoopTypesINSR_IJvvvEEES1S_EEEEEEvT0_,"axG",@progbits,_ZN4RAJA8internal22HipKernelLauncherFixedILi256ENS0_8LoopDataIN4camp5tupleIJNS_4SpanINS_9Iterators16numeric_iteratorIllPlEElEESA_SA_EEENS4_IJdEEENS3_9resources2v13HipEJZN8rajaperf9polybench13POLYBENCH_3MM17runHipVariantImplILm256EEEvNSG_9VariantIDEEUlRdE1_ZNSJ_ILm256EEEvSK_EUllllSL_E1_ZNSJ_ILm256EEEvSK_EUlllSL_E1_EEENS0_24HipStatementListExecutorISP_NS3_4listIJNS_9statement3ForILl0ENS_6policy3hip11hip_indexerINS_17iteration_mapping6DirectELNS_23kernel_sync_requirementE0EJNS_3hip11IndexGlobalILNS_9named_dimE1ELi8ELi0EEEEEEJNST_ILl1ENSW_ISY_LSZ_0EJNS11_ILS12_0ELi32ELi0EEEEEEJNSS_6LambdaILl0EJNSR_IJNS0_9LambdaArgINS0_18lambda_arg_param_tELl0EEEEEEEEENST_ILl2ENSU_10sequential8seq_execEJNS17_ILl1EJNSR_IJNS18_INS0_16lambda_arg_seg_tELl0EEENS18_IS1F_Ll1EEENS18_IS1F_Ll2EEEEEES1B_EEEEEENS17_ILl2EJNSR_IJS1G_S1H_EEES1B_EEEEEEEEEEEENS0_9LoopTypesINSR_IJvvvEEES1S_EEEEEEvT0_,comdat
.Lfunc_end8:
	.size	_ZN4RAJA8internal22HipKernelLauncherFixedILi256ENS0_8LoopDataIN4camp5tupleIJNS_4SpanINS_9Iterators16numeric_iteratorIllPlEElEESA_SA_EEENS4_IJdEEENS3_9resources2v13HipEJZN8rajaperf9polybench13POLYBENCH_3MM17runHipVariantImplILm256EEEvNSG_9VariantIDEEUlRdE1_ZNSJ_ILm256EEEvSK_EUllllSL_E1_ZNSJ_ILm256EEEvSK_EUlllSL_E1_EEENS0_24HipStatementListExecutorISP_NS3_4listIJNS_9statement3ForILl0ENS_6policy3hip11hip_indexerINS_17iteration_mapping6DirectELNS_23kernel_sync_requirementE0EJNS_3hip11IndexGlobalILNS_9named_dimE1ELi8ELi0EEEEEEJNST_ILl1ENSW_ISY_LSZ_0EJNS11_ILS12_0ELi32ELi0EEEEEEJNSS_6LambdaILl0EJNSR_IJNS0_9LambdaArgINS0_18lambda_arg_param_tELl0EEEEEEEEENST_ILl2ENSU_10sequential8seq_execEJNS17_ILl1EJNSR_IJNS18_INS0_16lambda_arg_seg_tELl0EEENS18_IS1F_Ll1EEENS18_IS1F_Ll2EEEEEES1B_EEEEEENS17_ILl2EJNSR_IJS1G_S1H_EEES1B_EEEEEEEEEEEENS0_9LoopTypesINSR_IJvvvEEES1S_EEEEEEvT0_, .Lfunc_end8-_ZN4RAJA8internal22HipKernelLauncherFixedILi256ENS0_8LoopDataIN4camp5tupleIJNS_4SpanINS_9Iterators16numeric_iteratorIllPlEElEESA_SA_EEENS4_IJdEEENS3_9resources2v13HipEJZN8rajaperf9polybench13POLYBENCH_3MM17runHipVariantImplILm256EEEvNSG_9VariantIDEEUlRdE1_ZNSJ_ILm256EEEvSK_EUllllSL_E1_ZNSJ_ILm256EEEvSK_EUlllSL_E1_EEENS0_24HipStatementListExecutorISP_NS3_4listIJNS_9statement3ForILl0ENS_6policy3hip11hip_indexerINS_17iteration_mapping6DirectELNS_23kernel_sync_requirementE0EJNS_3hip11IndexGlobalILNS_9named_dimE1ELi8ELi0EEEEEEJNST_ILl1ENSW_ISY_LSZ_0EJNS11_ILS12_0ELi32ELi0EEEEEEJNSS_6LambdaILl0EJNSR_IJNS0_9LambdaArgINS0_18lambda_arg_param_tELl0EEEEEEEEENST_ILl2ENSU_10sequential8seq_execEJNS17_ILl1EJNSR_IJNS18_INS0_16lambda_arg_seg_tELl0EEENS18_IS1F_Ll1EEENS18_IS1F_Ll2EEEEEES1B_EEEEEENS17_ILl2EJNSR_IJS1G_S1H_EEES1B_EEEEEEEEEEEENS0_9LoopTypesINSR_IJvvvEEES1S_EEEEEEvT0_
                                        ; -- End function
	.set _ZN4RAJA8internal22HipKernelLauncherFixedILi256ENS0_8LoopDataIN4camp5tupleIJNS_4SpanINS_9Iterators16numeric_iteratorIllPlEElEESA_SA_EEENS4_IJdEEENS3_9resources2v13HipEJZN8rajaperf9polybench13POLYBENCH_3MM17runHipVariantImplILm256EEEvNSG_9VariantIDEEUlRdE1_ZNSJ_ILm256EEEvSK_EUllllSL_E1_ZNSJ_ILm256EEEvSK_EUlllSL_E1_EEENS0_24HipStatementListExecutorISP_NS3_4listIJNS_9statement3ForILl0ENS_6policy3hip11hip_indexerINS_17iteration_mapping6DirectELNS_23kernel_sync_requirementE0EJNS_3hip11IndexGlobalILNS_9named_dimE1ELi8ELi0EEEEEEJNST_ILl1ENSW_ISY_LSZ_0EJNS11_ILS12_0ELi32ELi0EEEEEEJNSS_6LambdaILl0EJNSR_IJNS0_9LambdaArgINS0_18lambda_arg_param_tELl0EEEEEEEEENST_ILl2ENSU_10sequential8seq_execEJNS17_ILl1EJNSR_IJNS18_INS0_16lambda_arg_seg_tELl0EEENS18_IS1F_Ll1EEENS18_IS1F_Ll2EEEEEES1B_EEEEEENS17_ILl2EJNSR_IJS1G_S1H_EEES1B_EEEEEEEEEEEENS0_9LoopTypesINSR_IJvvvEEES1S_EEEEEEvT0_.num_vgpr, 15
	.set _ZN4RAJA8internal22HipKernelLauncherFixedILi256ENS0_8LoopDataIN4camp5tupleIJNS_4SpanINS_9Iterators16numeric_iteratorIllPlEElEESA_SA_EEENS4_IJdEEENS3_9resources2v13HipEJZN8rajaperf9polybench13POLYBENCH_3MM17runHipVariantImplILm256EEEvNSG_9VariantIDEEUlRdE1_ZNSJ_ILm256EEEvSK_EUllllSL_E1_ZNSJ_ILm256EEEvSK_EUlllSL_E1_EEENS0_24HipStatementListExecutorISP_NS3_4listIJNS_9statement3ForILl0ENS_6policy3hip11hip_indexerINS_17iteration_mapping6DirectELNS_23kernel_sync_requirementE0EJNS_3hip11IndexGlobalILNS_9named_dimE1ELi8ELi0EEEEEEJNST_ILl1ENSW_ISY_LSZ_0EJNS11_ILS12_0ELi32ELi0EEEEEEJNSS_6LambdaILl0EJNSR_IJNS0_9LambdaArgINS0_18lambda_arg_param_tELl0EEEEEEEEENST_ILl2ENSU_10sequential8seq_execEJNS17_ILl1EJNSR_IJNS18_INS0_16lambda_arg_seg_tELl0EEENS18_IS1F_Ll1EEENS18_IS1F_Ll2EEEEEES1B_EEEEEENS17_ILl2EJNSR_IJS1G_S1H_EEES1B_EEEEEEEEEEEENS0_9LoopTypesINSR_IJvvvEEES1S_EEEEEEvT0_.num_agpr, 0
	.set _ZN4RAJA8internal22HipKernelLauncherFixedILi256ENS0_8LoopDataIN4camp5tupleIJNS_4SpanINS_9Iterators16numeric_iteratorIllPlEElEESA_SA_EEENS4_IJdEEENS3_9resources2v13HipEJZN8rajaperf9polybench13POLYBENCH_3MM17runHipVariantImplILm256EEEvNSG_9VariantIDEEUlRdE1_ZNSJ_ILm256EEEvSK_EUllllSL_E1_ZNSJ_ILm256EEEvSK_EUlllSL_E1_EEENS0_24HipStatementListExecutorISP_NS3_4listIJNS_9statement3ForILl0ENS_6policy3hip11hip_indexerINS_17iteration_mapping6DirectELNS_23kernel_sync_requirementE0EJNS_3hip11IndexGlobalILNS_9named_dimE1ELi8ELi0EEEEEEJNST_ILl1ENSW_ISY_LSZ_0EJNS11_ILS12_0ELi32ELi0EEEEEEJNSS_6LambdaILl0EJNSR_IJNS0_9LambdaArgINS0_18lambda_arg_param_tELl0EEEEEEEEENST_ILl2ENSU_10sequential8seq_execEJNS17_ILl1EJNSR_IJNS18_INS0_16lambda_arg_seg_tELl0EEENS18_IS1F_Ll1EEENS18_IS1F_Ll2EEEEEES1B_EEEEEENS17_ILl2EJNSR_IJS1G_S1H_EEES1B_EEEEEEEEEEEENS0_9LoopTypesINSR_IJvvvEEES1S_EEEEEEvT0_.numbered_sgpr, 26
	.set _ZN4RAJA8internal22HipKernelLauncherFixedILi256ENS0_8LoopDataIN4camp5tupleIJNS_4SpanINS_9Iterators16numeric_iteratorIllPlEElEESA_SA_EEENS4_IJdEEENS3_9resources2v13HipEJZN8rajaperf9polybench13POLYBENCH_3MM17runHipVariantImplILm256EEEvNSG_9VariantIDEEUlRdE1_ZNSJ_ILm256EEEvSK_EUllllSL_E1_ZNSJ_ILm256EEEvSK_EUlllSL_E1_EEENS0_24HipStatementListExecutorISP_NS3_4listIJNS_9statement3ForILl0ENS_6policy3hip11hip_indexerINS_17iteration_mapping6DirectELNS_23kernel_sync_requirementE0EJNS_3hip11IndexGlobalILNS_9named_dimE1ELi8ELi0EEEEEEJNST_ILl1ENSW_ISY_LSZ_0EJNS11_ILS12_0ELi32ELi0EEEEEEJNSS_6LambdaILl0EJNSR_IJNS0_9LambdaArgINS0_18lambda_arg_param_tELl0EEEEEEEEENST_ILl2ENSU_10sequential8seq_execEJNS17_ILl1EJNSR_IJNS18_INS0_16lambda_arg_seg_tELl0EEENS18_IS1F_Ll1EEENS18_IS1F_Ll2EEEEEES1B_EEEEEENS17_ILl2EJNSR_IJS1G_S1H_EEES1B_EEEEEEEEEEEENS0_9LoopTypesINSR_IJvvvEEES1S_EEEEEEvT0_.num_named_barrier, 0
	.set _ZN4RAJA8internal22HipKernelLauncherFixedILi256ENS0_8LoopDataIN4camp5tupleIJNS_4SpanINS_9Iterators16numeric_iteratorIllPlEElEESA_SA_EEENS4_IJdEEENS3_9resources2v13HipEJZN8rajaperf9polybench13POLYBENCH_3MM17runHipVariantImplILm256EEEvNSG_9VariantIDEEUlRdE1_ZNSJ_ILm256EEEvSK_EUllllSL_E1_ZNSJ_ILm256EEEvSK_EUlllSL_E1_EEENS0_24HipStatementListExecutorISP_NS3_4listIJNS_9statement3ForILl0ENS_6policy3hip11hip_indexerINS_17iteration_mapping6DirectELNS_23kernel_sync_requirementE0EJNS_3hip11IndexGlobalILNS_9named_dimE1ELi8ELi0EEEEEEJNST_ILl1ENSW_ISY_LSZ_0EJNS11_ILS12_0ELi32ELi0EEEEEEJNSS_6LambdaILl0EJNSR_IJNS0_9LambdaArgINS0_18lambda_arg_param_tELl0EEEEEEEEENST_ILl2ENSU_10sequential8seq_execEJNS17_ILl1EJNSR_IJNS18_INS0_16lambda_arg_seg_tELl0EEENS18_IS1F_Ll1EEENS18_IS1F_Ll2EEEEEES1B_EEEEEENS17_ILl2EJNSR_IJS1G_S1H_EEES1B_EEEEEEEEEEEENS0_9LoopTypesINSR_IJvvvEEES1S_EEEEEEvT0_.private_seg_size, 0
	.set _ZN4RAJA8internal22HipKernelLauncherFixedILi256ENS0_8LoopDataIN4camp5tupleIJNS_4SpanINS_9Iterators16numeric_iteratorIllPlEElEESA_SA_EEENS4_IJdEEENS3_9resources2v13HipEJZN8rajaperf9polybench13POLYBENCH_3MM17runHipVariantImplILm256EEEvNSG_9VariantIDEEUlRdE1_ZNSJ_ILm256EEEvSK_EUllllSL_E1_ZNSJ_ILm256EEEvSK_EUlllSL_E1_EEENS0_24HipStatementListExecutorISP_NS3_4listIJNS_9statement3ForILl0ENS_6policy3hip11hip_indexerINS_17iteration_mapping6DirectELNS_23kernel_sync_requirementE0EJNS_3hip11IndexGlobalILNS_9named_dimE1ELi8ELi0EEEEEEJNST_ILl1ENSW_ISY_LSZ_0EJNS11_ILS12_0ELi32ELi0EEEEEEJNSS_6LambdaILl0EJNSR_IJNS0_9LambdaArgINS0_18lambda_arg_param_tELl0EEEEEEEEENST_ILl2ENSU_10sequential8seq_execEJNS17_ILl1EJNSR_IJNS18_INS0_16lambda_arg_seg_tELl0EEENS18_IS1F_Ll1EEENS18_IS1F_Ll2EEEEEES1B_EEEEEENS17_ILl2EJNSR_IJS1G_S1H_EEES1B_EEEEEEEEEEEENS0_9LoopTypesINSR_IJvvvEEES1S_EEEEEEvT0_.uses_vcc, 1
	.set _ZN4RAJA8internal22HipKernelLauncherFixedILi256ENS0_8LoopDataIN4camp5tupleIJNS_4SpanINS_9Iterators16numeric_iteratorIllPlEElEESA_SA_EEENS4_IJdEEENS3_9resources2v13HipEJZN8rajaperf9polybench13POLYBENCH_3MM17runHipVariantImplILm256EEEvNSG_9VariantIDEEUlRdE1_ZNSJ_ILm256EEEvSK_EUllllSL_E1_ZNSJ_ILm256EEEvSK_EUlllSL_E1_EEENS0_24HipStatementListExecutorISP_NS3_4listIJNS_9statement3ForILl0ENS_6policy3hip11hip_indexerINS_17iteration_mapping6DirectELNS_23kernel_sync_requirementE0EJNS_3hip11IndexGlobalILNS_9named_dimE1ELi8ELi0EEEEEEJNST_ILl1ENSW_ISY_LSZ_0EJNS11_ILS12_0ELi32ELi0EEEEEEJNSS_6LambdaILl0EJNSR_IJNS0_9LambdaArgINS0_18lambda_arg_param_tELl0EEEEEEEEENST_ILl2ENSU_10sequential8seq_execEJNS17_ILl1EJNSR_IJNS18_INS0_16lambda_arg_seg_tELl0EEENS18_IS1F_Ll1EEENS18_IS1F_Ll2EEEEEES1B_EEEEEENS17_ILl2EJNSR_IJS1G_S1H_EEES1B_EEEEEEEEEEEENS0_9LoopTypesINSR_IJvvvEEES1S_EEEEEEvT0_.uses_flat_scratch, 0
	.set _ZN4RAJA8internal22HipKernelLauncherFixedILi256ENS0_8LoopDataIN4camp5tupleIJNS_4SpanINS_9Iterators16numeric_iteratorIllPlEElEESA_SA_EEENS4_IJdEEENS3_9resources2v13HipEJZN8rajaperf9polybench13POLYBENCH_3MM17runHipVariantImplILm256EEEvNSG_9VariantIDEEUlRdE1_ZNSJ_ILm256EEEvSK_EUllllSL_E1_ZNSJ_ILm256EEEvSK_EUlllSL_E1_EEENS0_24HipStatementListExecutorISP_NS3_4listIJNS_9statement3ForILl0ENS_6policy3hip11hip_indexerINS_17iteration_mapping6DirectELNS_23kernel_sync_requirementE0EJNS_3hip11IndexGlobalILNS_9named_dimE1ELi8ELi0EEEEEEJNST_ILl1ENSW_ISY_LSZ_0EJNS11_ILS12_0ELi32ELi0EEEEEEJNSS_6LambdaILl0EJNSR_IJNS0_9LambdaArgINS0_18lambda_arg_param_tELl0EEEEEEEEENST_ILl2ENSU_10sequential8seq_execEJNS17_ILl1EJNSR_IJNS18_INS0_16lambda_arg_seg_tELl0EEENS18_IS1F_Ll1EEENS18_IS1F_Ll2EEEEEES1B_EEEEEENS17_ILl2EJNSR_IJS1G_S1H_EEES1B_EEEEEEEEEEEENS0_9LoopTypesINSR_IJvvvEEES1S_EEEEEEvT0_.has_dyn_sized_stack, 0
	.set _ZN4RAJA8internal22HipKernelLauncherFixedILi256ENS0_8LoopDataIN4camp5tupleIJNS_4SpanINS_9Iterators16numeric_iteratorIllPlEElEESA_SA_EEENS4_IJdEEENS3_9resources2v13HipEJZN8rajaperf9polybench13POLYBENCH_3MM17runHipVariantImplILm256EEEvNSG_9VariantIDEEUlRdE1_ZNSJ_ILm256EEEvSK_EUllllSL_E1_ZNSJ_ILm256EEEvSK_EUlllSL_E1_EEENS0_24HipStatementListExecutorISP_NS3_4listIJNS_9statement3ForILl0ENS_6policy3hip11hip_indexerINS_17iteration_mapping6DirectELNS_23kernel_sync_requirementE0EJNS_3hip11IndexGlobalILNS_9named_dimE1ELi8ELi0EEEEEEJNST_ILl1ENSW_ISY_LSZ_0EJNS11_ILS12_0ELi32ELi0EEEEEEJNSS_6LambdaILl0EJNSR_IJNS0_9LambdaArgINS0_18lambda_arg_param_tELl0EEEEEEEEENST_ILl2ENSU_10sequential8seq_execEJNS17_ILl1EJNSR_IJNS18_INS0_16lambda_arg_seg_tELl0EEENS18_IS1F_Ll1EEENS18_IS1F_Ll2EEEEEES1B_EEEEEENS17_ILl2EJNSR_IJS1G_S1H_EEES1B_EEEEEEEEEEEENS0_9LoopTypesINSR_IJvvvEEES1S_EEEEEEvT0_.has_recursion, 0
	.set _ZN4RAJA8internal22HipKernelLauncherFixedILi256ENS0_8LoopDataIN4camp5tupleIJNS_4SpanINS_9Iterators16numeric_iteratorIllPlEElEESA_SA_EEENS4_IJdEEENS3_9resources2v13HipEJZN8rajaperf9polybench13POLYBENCH_3MM17runHipVariantImplILm256EEEvNSG_9VariantIDEEUlRdE1_ZNSJ_ILm256EEEvSK_EUllllSL_E1_ZNSJ_ILm256EEEvSK_EUlllSL_E1_EEENS0_24HipStatementListExecutorISP_NS3_4listIJNS_9statement3ForILl0ENS_6policy3hip11hip_indexerINS_17iteration_mapping6DirectELNS_23kernel_sync_requirementE0EJNS_3hip11IndexGlobalILNS_9named_dimE1ELi8ELi0EEEEEEJNST_ILl1ENSW_ISY_LSZ_0EJNS11_ILS12_0ELi32ELi0EEEEEEJNSS_6LambdaILl0EJNSR_IJNS0_9LambdaArgINS0_18lambda_arg_param_tELl0EEEEEEEEENST_ILl2ENSU_10sequential8seq_execEJNS17_ILl1EJNSR_IJNS18_INS0_16lambda_arg_seg_tELl0EEENS18_IS1F_Ll1EEENS18_IS1F_Ll2EEEEEES1B_EEEEEENS17_ILl2EJNSR_IJS1G_S1H_EEES1B_EEEEEEEEEEEENS0_9LoopTypesINSR_IJvvvEEES1S_EEEEEEvT0_.has_indirect_call, 0
	.section	.AMDGPU.csdata,"",@progbits
; Kernel info:
; codeLenInByte = 592
; TotalNumSgprs: 30
; NumVgprs: 15
; ScratchSize: 0
; MemoryBound: 1
; FloatMode: 240
; IeeeMode: 1
; LDSByteSize: 0 bytes/workgroup (compile time only)
; SGPRBlocks: 3
; VGPRBlocks: 3
; NumSGPRsForWavesPerEU: 30
; NumVGPRsForWavesPerEU: 15
; Occupancy: 10
; WaveLimiterHint : 0
; COMPUTE_PGM_RSRC2:SCRATCH_EN: 0
; COMPUTE_PGM_RSRC2:USER_SGPR: 6
; COMPUTE_PGM_RSRC2:TRAP_HANDLER: 0
; COMPUTE_PGM_RSRC2:TGID_X_EN: 1
; COMPUTE_PGM_RSRC2:TGID_Y_EN: 1
; COMPUTE_PGM_RSRC2:TGID_Z_EN: 0
; COMPUTE_PGM_RSRC2:TIDIG_COMP_CNT: 1
	.section	.AMDGPU.gpr_maximums,"",@progbits
	.set amdgpu.max_num_vgpr, 0
	.set amdgpu.max_num_agpr, 0
	.set amdgpu.max_num_sgpr, 0
	.section	.AMDGPU.csdata,"",@progbits
	.type	__hip_cuid_6dac3444654d3236,@object ; @__hip_cuid_6dac3444654d3236
	.section	.bss,"aw",@nobits
	.globl	__hip_cuid_6dac3444654d3236
__hip_cuid_6dac3444654d3236:
	.byte	0                               ; 0x0
	.size	__hip_cuid_6dac3444654d3236, 1

	.ident	"AMD clang version 22.0.0git (https://github.com/RadeonOpenCompute/llvm-project roc-7.2.4 26084 f58b06dce1f9c15707c5f808fd002e18c2accf7e)"
	.section	".note.GNU-stack","",@progbits
	.addrsig
	.addrsig_sym __hip_cuid_6dac3444654d3236
	.amdgpu_metadata
---
amdhsa.kernels:
  - .args:
      - .address_space:  global
        .offset:         0
        .size:           8
        .value_kind:     global_buffer
      - .address_space:  global
        .offset:         8
        .size:           8
        .value_kind:     global_buffer
      - .address_space:  global
        .offset:         16
        .size:           8
        .value_kind:     global_buffer
      - .offset:         24
        .size:           8
        .value_kind:     by_value
      - .offset:         32
        .size:           8
        .value_kind:     by_value
      - .offset:         40
        .size:           8
        .value_kind:     by_value
    .group_segment_fixed_size: 0
    .kernarg_segment_align: 8
    .kernarg_segment_size: 48
    .language:       OpenCL C
    .language_version:
      - 2
      - 0
    .max_flat_workgroup_size: 256
    .name:           _ZN8rajaperf9polybench10poly_3mm_1ILm32ELm8EEEvPdS2_S2_lll
    .private_segment_fixed_size: 0
    .sgpr_count:     24
    .sgpr_spill_count: 0
    .symbol:         _ZN8rajaperf9polybench10poly_3mm_1ILm32ELm8EEEvPdS2_S2_lll.kd
    .uniform_work_group_size: 1
    .uses_dynamic_stack: false
    .vgpr_count:     15
    .vgpr_spill_count: 0
    .wavefront_size: 64
  - .args:
      - .address_space:  global
        .offset:         0
        .size:           8
        .value_kind:     global_buffer
      - .address_space:  global
        .offset:         8
        .size:           8
        .value_kind:     global_buffer
      - .address_space:  global
        .offset:         16
        .size:           8
        .value_kind:     global_buffer
      - .offset:         24
        .size:           8
        .value_kind:     by_value
      - .offset:         32
        .size:           8
        .value_kind:     by_value
      - .offset:         40
        .size:           8
        .value_kind:     by_value
    .group_segment_fixed_size: 0
    .kernarg_segment_align: 8
    .kernarg_segment_size: 48
    .language:       OpenCL C
    .language_version:
      - 2
      - 0
    .max_flat_workgroup_size: 256
    .name:           _ZN8rajaperf9polybench10poly_3mm_2ILm32ELm8EEEvPdS2_S2_lll
    .private_segment_fixed_size: 0
    .sgpr_count:     24
    .sgpr_spill_count: 0
    .symbol:         _ZN8rajaperf9polybench10poly_3mm_2ILm32ELm8EEEvPdS2_S2_lll.kd
    .uniform_work_group_size: 1
    .uses_dynamic_stack: false
    .vgpr_count:     15
    .vgpr_spill_count: 0
    .wavefront_size: 64
  - .args:
      - .address_space:  global
        .offset:         0
        .size:           8
        .value_kind:     global_buffer
      - .address_space:  global
        .offset:         8
        .size:           8
        .value_kind:     global_buffer
      - .address_space:  global
        .offset:         16
        .size:           8
        .value_kind:     global_buffer
      - .offset:         24
        .size:           8
        .value_kind:     by_value
      - .offset:         32
        .size:           8
        .value_kind:     by_value
      - .offset:         40
        .size:           8
        .value_kind:     by_value
    .group_segment_fixed_size: 0
    .kernarg_segment_align: 8
    .kernarg_segment_size: 48
    .language:       OpenCL C
    .language_version:
      - 2
      - 0
    .max_flat_workgroup_size: 256
    .name:           _ZN8rajaperf9polybench10poly_3mm_3ILm32ELm8EEEvPdS2_S2_lll
    .private_segment_fixed_size: 0
    .sgpr_count:     24
    .sgpr_spill_count: 0
    .symbol:         _ZN8rajaperf9polybench10poly_3mm_3ILm32ELm8EEEvPdS2_S2_lll.kd
    .uniform_work_group_size: 1
    .uses_dynamic_stack: false
    .vgpr_count:     15
    .vgpr_spill_count: 0
    .wavefront_size: 64
  - .args:
      - .offset:         0
        .size:           8
        .value_kind:     by_value
      - .offset:         8
        .size:           8
        .value_kind:     by_value
      - .offset:         16
        .size:           40
        .value_kind:     by_value
    .group_segment_fixed_size: 0
    .kernarg_segment_align: 8
    .kernarg_segment_size: 56
    .language:       OpenCL C
    .language_version:
      - 2
      - 0
    .max_flat_workgroup_size: 256
    .name:           _ZN8rajaperf9polybench14poly_3mm_1_lamILm32ELm8EZNS0_13POLYBENCH_3MM17runHipVariantImplILm256EEEvNS_9VariantIDEEUlllE_EEvllT1_
    .private_segment_fixed_size: 0
    .sgpr_count:     28
    .sgpr_spill_count: 0
    .symbol:         _ZN8rajaperf9polybench14poly_3mm_1_lamILm32ELm8EZNS0_13POLYBENCH_3MM17runHipVariantImplILm256EEEvNS_9VariantIDEEUlllE_EEvllT1_.kd
    .uniform_work_group_size: 1
    .uses_dynamic_stack: false
    .vgpr_count:     15
    .vgpr_spill_count: 0
    .wavefront_size: 64
  - .args:
      - .offset:         0
        .size:           8
        .value_kind:     by_value
      - .offset:         8
        .size:           8
        .value_kind:     by_value
      - .offset:         16
        .size:           40
        .value_kind:     by_value
    .group_segment_fixed_size: 0
    .kernarg_segment_align: 8
    .kernarg_segment_size: 56
    .language:       OpenCL C
    .language_version:
      - 2
      - 0
    .max_flat_workgroup_size: 256
    .name:           _ZN8rajaperf9polybench14poly_3mm_2_lamILm32ELm8EZNS0_13POLYBENCH_3MM17runHipVariantImplILm256EEEvNS_9VariantIDEEUlllE0_EEvllT1_
    .private_segment_fixed_size: 0
    .sgpr_count:     28
    .sgpr_spill_count: 0
    .symbol:         _ZN8rajaperf9polybench14poly_3mm_2_lamILm32ELm8EZNS0_13POLYBENCH_3MM17runHipVariantImplILm256EEEvNS_9VariantIDEEUlllE0_EEvllT1_.kd
    .uniform_work_group_size: 1
    .uses_dynamic_stack: false
    .vgpr_count:     15
    .vgpr_spill_count: 0
    .wavefront_size: 64
  - .args:
      - .offset:         0
        .size:           8
        .value_kind:     by_value
      - .offset:         8
        .size:           8
        .value_kind:     by_value
      - .offset:         16
        .size:           40
        .value_kind:     by_value
    .group_segment_fixed_size: 0
    .kernarg_segment_align: 8
    .kernarg_segment_size: 56
    .language:       OpenCL C
    .language_version:
      - 2
      - 0
    .max_flat_workgroup_size: 256
    .name:           _ZN8rajaperf9polybench14poly_3mm_3_lamILm32ELm8EZNS0_13POLYBENCH_3MM17runHipVariantImplILm256EEEvNS_9VariantIDEEUlllE1_EEvllT1_
    .private_segment_fixed_size: 0
    .sgpr_count:     28
    .sgpr_spill_count: 0
    .symbol:         _ZN8rajaperf9polybench14poly_3mm_3_lamILm32ELm8EZNS0_13POLYBENCH_3MM17runHipVariantImplILm256EEEvNS_9VariantIDEEUlllE1_EEvllT1_.kd
    .uniform_work_group_size: 1
    .uses_dynamic_stack: false
    .vgpr_count:     15
    .vgpr_spill_count: 0
    .wavefront_size: 64
  - .args:
      - .offset:         0
        .size:           328
        .value_kind:     by_value
    .group_segment_fixed_size: 0
    .kernarg_segment_align: 8
    .kernarg_segment_size: 328
    .language:       OpenCL C
    .language_version:
      - 2
      - 0
    .max_flat_workgroup_size: 256
    .name:           _ZN4RAJA8internal22HipKernelLauncherFixedILi256ENS0_8LoopDataIN4camp5tupleIJNS_4SpanINS_9Iterators16numeric_iteratorIllPlEElEESA_SA_EEENS4_IJdEEENS3_9resources2v13HipEJZN8rajaperf9polybench13POLYBENCH_3MM17runHipVariantImplILm256EEEvNSG_9VariantIDEEUlRdE_ZNSJ_ILm256EEEvSK_EUllllSL_E_ZNSJ_ILm256EEEvSK_EUlllSL_E_EEENS0_24HipStatementListExecutorISP_NS3_4listIJNS_9statement3ForILl0ENS_6policy3hip11hip_indexerINS_17iteration_mapping6DirectELNS_23kernel_sync_requirementE0EJNS_3hip11IndexGlobalILNS_9named_dimE1ELi8ELi0EEEEEEJNST_ILl1ENSW_ISY_LSZ_0EJNS11_ILS12_0ELi32ELi0EEEEEEJNSS_6LambdaILl0EJNSR_IJNS0_9LambdaArgINS0_18lambda_arg_param_tELl0EEEEEEEEENST_ILl2ENSU_10sequential8seq_execEJNS17_ILl1EJNSR_IJNS18_INS0_16lambda_arg_seg_tELl0EEENS18_IS1F_Ll1EEENS18_IS1F_Ll2EEEEEES1B_EEEEEENS17_ILl2EJNSR_IJS1G_S1H_EEES1B_EEEEEEEEEEEENS0_9LoopTypesINSR_IJvvvEEES1S_EEEEEEvT0_
    .private_segment_fixed_size: 0
    .sgpr_count:     30
    .sgpr_spill_count: 0
    .symbol:         _ZN4RAJA8internal22HipKernelLauncherFixedILi256ENS0_8LoopDataIN4camp5tupleIJNS_4SpanINS_9Iterators16numeric_iteratorIllPlEElEESA_SA_EEENS4_IJdEEENS3_9resources2v13HipEJZN8rajaperf9polybench13POLYBENCH_3MM17runHipVariantImplILm256EEEvNSG_9VariantIDEEUlRdE_ZNSJ_ILm256EEEvSK_EUllllSL_E_ZNSJ_ILm256EEEvSK_EUlllSL_E_EEENS0_24HipStatementListExecutorISP_NS3_4listIJNS_9statement3ForILl0ENS_6policy3hip11hip_indexerINS_17iteration_mapping6DirectELNS_23kernel_sync_requirementE0EJNS_3hip11IndexGlobalILNS_9named_dimE1ELi8ELi0EEEEEEJNST_ILl1ENSW_ISY_LSZ_0EJNS11_ILS12_0ELi32ELi0EEEEEEJNSS_6LambdaILl0EJNSR_IJNS0_9LambdaArgINS0_18lambda_arg_param_tELl0EEEEEEEEENST_ILl2ENSU_10sequential8seq_execEJNS17_ILl1EJNSR_IJNS18_INS0_16lambda_arg_seg_tELl0EEENS18_IS1F_Ll1EEENS18_IS1F_Ll2EEEEEES1B_EEEEEENS17_ILl2EJNSR_IJS1G_S1H_EEES1B_EEEEEEEEEEEENS0_9LoopTypesINSR_IJvvvEEES1S_EEEEEEvT0_.kd
    .uniform_work_group_size: 1
    .uses_dynamic_stack: false
    .vgpr_count:     15
    .vgpr_spill_count: 0
    .wavefront_size: 64
  - .args:
      - .offset:         0
        .size:           328
        .value_kind:     by_value
    .group_segment_fixed_size: 0
    .kernarg_segment_align: 8
    .kernarg_segment_size: 328
    .language:       OpenCL C
    .language_version:
      - 2
      - 0
    .max_flat_workgroup_size: 256
    .name:           _ZN4RAJA8internal22HipKernelLauncherFixedILi256ENS0_8LoopDataIN4camp5tupleIJNS_4SpanINS_9Iterators16numeric_iteratorIllPlEElEESA_SA_EEENS4_IJdEEENS3_9resources2v13HipEJZN8rajaperf9polybench13POLYBENCH_3MM17runHipVariantImplILm256EEEvNSG_9VariantIDEEUlRdE0_ZNSJ_ILm256EEEvSK_EUllllSL_E0_ZNSJ_ILm256EEEvSK_EUlllSL_E0_EEENS0_24HipStatementListExecutorISP_NS3_4listIJNS_9statement3ForILl0ENS_6policy3hip11hip_indexerINS_17iteration_mapping6DirectELNS_23kernel_sync_requirementE0EJNS_3hip11IndexGlobalILNS_9named_dimE1ELi8ELi0EEEEEEJNST_ILl1ENSW_ISY_LSZ_0EJNS11_ILS12_0ELi32ELi0EEEEEEJNSS_6LambdaILl0EJNSR_IJNS0_9LambdaArgINS0_18lambda_arg_param_tELl0EEEEEEEEENST_ILl2ENSU_10sequential8seq_execEJNS17_ILl1EJNSR_IJNS18_INS0_16lambda_arg_seg_tELl0EEENS18_IS1F_Ll1EEENS18_IS1F_Ll2EEEEEES1B_EEEEEENS17_ILl2EJNSR_IJS1G_S1H_EEES1B_EEEEEEEEEEEENS0_9LoopTypesINSR_IJvvvEEES1S_EEEEEEvT0_
    .private_segment_fixed_size: 0
    .sgpr_count:     30
    .sgpr_spill_count: 0
    .symbol:         _ZN4RAJA8internal22HipKernelLauncherFixedILi256ENS0_8LoopDataIN4camp5tupleIJNS_4SpanINS_9Iterators16numeric_iteratorIllPlEElEESA_SA_EEENS4_IJdEEENS3_9resources2v13HipEJZN8rajaperf9polybench13POLYBENCH_3MM17runHipVariantImplILm256EEEvNSG_9VariantIDEEUlRdE0_ZNSJ_ILm256EEEvSK_EUllllSL_E0_ZNSJ_ILm256EEEvSK_EUlllSL_E0_EEENS0_24HipStatementListExecutorISP_NS3_4listIJNS_9statement3ForILl0ENS_6policy3hip11hip_indexerINS_17iteration_mapping6DirectELNS_23kernel_sync_requirementE0EJNS_3hip11IndexGlobalILNS_9named_dimE1ELi8ELi0EEEEEEJNST_ILl1ENSW_ISY_LSZ_0EJNS11_ILS12_0ELi32ELi0EEEEEEJNSS_6LambdaILl0EJNSR_IJNS0_9LambdaArgINS0_18lambda_arg_param_tELl0EEEEEEEEENST_ILl2ENSU_10sequential8seq_execEJNS17_ILl1EJNSR_IJNS18_INS0_16lambda_arg_seg_tELl0EEENS18_IS1F_Ll1EEENS18_IS1F_Ll2EEEEEES1B_EEEEEENS17_ILl2EJNSR_IJS1G_S1H_EEES1B_EEEEEEEEEEEENS0_9LoopTypesINSR_IJvvvEEES1S_EEEEEEvT0_.kd
    .uniform_work_group_size: 1
    .uses_dynamic_stack: false
    .vgpr_count:     15
    .vgpr_spill_count: 0
    .wavefront_size: 64
  - .args:
      - .offset:         0
        .size:           328
        .value_kind:     by_value
    .group_segment_fixed_size: 0
    .kernarg_segment_align: 8
    .kernarg_segment_size: 328
    .language:       OpenCL C
    .language_version:
      - 2
      - 0
    .max_flat_workgroup_size: 256
    .name:           _ZN4RAJA8internal22HipKernelLauncherFixedILi256ENS0_8LoopDataIN4camp5tupleIJNS_4SpanINS_9Iterators16numeric_iteratorIllPlEElEESA_SA_EEENS4_IJdEEENS3_9resources2v13HipEJZN8rajaperf9polybench13POLYBENCH_3MM17runHipVariantImplILm256EEEvNSG_9VariantIDEEUlRdE1_ZNSJ_ILm256EEEvSK_EUllllSL_E1_ZNSJ_ILm256EEEvSK_EUlllSL_E1_EEENS0_24HipStatementListExecutorISP_NS3_4listIJNS_9statement3ForILl0ENS_6policy3hip11hip_indexerINS_17iteration_mapping6DirectELNS_23kernel_sync_requirementE0EJNS_3hip11IndexGlobalILNS_9named_dimE1ELi8ELi0EEEEEEJNST_ILl1ENSW_ISY_LSZ_0EJNS11_ILS12_0ELi32ELi0EEEEEEJNSS_6LambdaILl0EJNSR_IJNS0_9LambdaArgINS0_18lambda_arg_param_tELl0EEEEEEEEENST_ILl2ENSU_10sequential8seq_execEJNS17_ILl1EJNSR_IJNS18_INS0_16lambda_arg_seg_tELl0EEENS18_IS1F_Ll1EEENS18_IS1F_Ll2EEEEEES1B_EEEEEENS17_ILl2EJNSR_IJS1G_S1H_EEES1B_EEEEEEEEEEEENS0_9LoopTypesINSR_IJvvvEEES1S_EEEEEEvT0_
    .private_segment_fixed_size: 0
    .sgpr_count:     30
    .sgpr_spill_count: 0
    .symbol:         _ZN4RAJA8internal22HipKernelLauncherFixedILi256ENS0_8LoopDataIN4camp5tupleIJNS_4SpanINS_9Iterators16numeric_iteratorIllPlEElEESA_SA_EEENS4_IJdEEENS3_9resources2v13HipEJZN8rajaperf9polybench13POLYBENCH_3MM17runHipVariantImplILm256EEEvNSG_9VariantIDEEUlRdE1_ZNSJ_ILm256EEEvSK_EUllllSL_E1_ZNSJ_ILm256EEEvSK_EUlllSL_E1_EEENS0_24HipStatementListExecutorISP_NS3_4listIJNS_9statement3ForILl0ENS_6policy3hip11hip_indexerINS_17iteration_mapping6DirectELNS_23kernel_sync_requirementE0EJNS_3hip11IndexGlobalILNS_9named_dimE1ELi8ELi0EEEEEEJNST_ILl1ENSW_ISY_LSZ_0EJNS11_ILS12_0ELi32ELi0EEEEEEJNSS_6LambdaILl0EJNSR_IJNS0_9LambdaArgINS0_18lambda_arg_param_tELl0EEEEEEEEENST_ILl2ENSU_10sequential8seq_execEJNS17_ILl1EJNSR_IJNS18_INS0_16lambda_arg_seg_tELl0EEENS18_IS1F_Ll1EEENS18_IS1F_Ll2EEEEEES1B_EEEEEENS17_ILl2EJNSR_IJS1G_S1H_EEES1B_EEEEEEEEEEEENS0_9LoopTypesINSR_IJvvvEEES1S_EEEEEEvT0_.kd
    .uniform_work_group_size: 1
    .uses_dynamic_stack: false
    .vgpr_count:     15
    .vgpr_spill_count: 0
    .wavefront_size: 64
amdhsa.target:   amdgcn-amd-amdhsa--gfx906
amdhsa.version:
  - 1
  - 2
...

	.end_amdgpu_metadata
